;; amdgpu-corpus repo=ROCm/rccl kind=compiled arch=gfx1100 opt=O3
	.text
	.amdgcn_target "amdgcn-amd-amdhsa--gfx1100"
	.amdhsa_code_object_version 6
	.p2align	2                               ; -- Begin function _ZN12_GLOBAL__N_17runRingI12hip_bfloat1613FuncPreMulSumIS1_E7ProtoLLLi0ELi1ELi0EEEviiP15ncclDevWorkColl
	.type	_ZN12_GLOBAL__N_17runRingI12hip_bfloat1613FuncPreMulSumIS1_E7ProtoLLLi0ELi1ELi0EEEviiP15ncclDevWorkColl,@function
_ZN12_GLOBAL__N_17runRingI12hip_bfloat1613FuncPreMulSumIS1_E7ProtoLLLi0ELi1ELi0EEEviiP15ncclDevWorkColl: ; @_ZN12_GLOBAL__N_17runRingI12hip_bfloat1613FuncPreMulSumIS1_E7ProtoLLLi0ELi1ELi0EEEviiP15ncclDevWorkColl
; %bb.0:
	s_waitcnt vmcnt(0) expcnt(0) lgkmcnt(0)
	s_cbranch_execnz .LBB0_15
; %bb.1:
	v_mov_b32_e32 v4, v0
	s_clause 0x2
	flat_load_b32 v0, v[2:3]
	flat_load_b128 v[5:8], v[2:3] offset:72
	flat_load_b64 v[19:20], v[2:3] offset:88
	s_mov_b32 s0, exec_lo
                                        ; implicit-def: $vgpr17_vgpr18
                                        ; implicit-def: $vgpr25_vgpr26
	s_waitcnt vmcnt(2) lgkmcnt(2)
	v_and_b32_e32 v12, 0xff, v0
	v_bfe_u32 v11, v0, 8, 8
	ds_load_b32 v10, v0
	v_not_b32_e32 v9, v12
	s_delay_alu instid0(VALU_DEP_1)
	v_add_nc_u32_e32 v0, v11, v9
	ds_load_b64 v[23:24], v0
	v_ashrrev_i32_e32 v13, 31, v0
	s_waitcnt vmcnt(1) lgkmcnt(3)
	v_mul_lo_u32 v14, v8, v0
	v_mad_u64_u32 v[54:55], null, v7, v0, 0
	s_delay_alu instid0(VALU_DEP_3) | instskip(SKIP_2) | instid1(VALU_DEP_2)
	v_mul_lo_u32 v0, v7, v13
	s_waitcnt lgkmcnt(1)
	v_readfirstlane_b32 s14, v10
	v_add3_u32 v0, v55, v0, v14
	v_cmpx_ne_u32_e64 v12, v10
	s_xor_b32 s0, exec_lo, s0
	s_cbranch_execz .LBB0_7
; %bb.2:
	s_mov_b32 s1, exec_lo
                                        ; implicit-def: $vgpr17_vgpr18
                                        ; implicit-def: $vgpr25_vgpr26
	v_cmpx_ne_u32_e64 v11, v10
	s_xor_b32 s1, exec_lo, s1
	s_cbranch_execz .LBB0_4
; %bb.3:
	flat_load_b64 v[11:12], v[2:3] offset:96
	v_add_nc_u32_e32 v9, v10, v9
	s_delay_alu instid0(VALU_DEP_1) | instskip(SKIP_2) | instid1(VALU_DEP_3)
	v_ashrrev_i32_e32 v10, 31, v9
	v_mul_lo_u32 v13, v8, v9
	v_mad_u64_u32 v[25:26], null, v7, v9, v[5:6]
	v_mul_lo_u32 v10, v7, v10
	s_delay_alu instid0(VALU_DEP_1)
	v_add3_u32 v26, v13, v26, v10
	s_waitcnt vmcnt(0) lgkmcnt(0)
	v_lshrrev_b64 v[17:18], 18, v[11:12]
.LBB0_4:
	s_and_not1_saveexec_b32 s1, s1
	s_cbranch_execz .LBB0_6
; %bb.5:
	flat_load_b32 v7, v[2:3] offset:100
	v_add_co_u32 v25, vcc_lo, v54, v5
	v_add_co_ci_u32_e32 v26, vcc_lo, v0, v6, vcc_lo
	s_waitcnt vmcnt(0) lgkmcnt(0)
	v_lshrrev_b32_e32 v17, 7, v7
	v_dual_mov_b32 v7, v19 :: v_dual_mov_b32 v8, v20
.LBB0_6:
	s_or_b32 exec_lo, exec_lo, s1
.LBB0_7:
	s_and_not1_saveexec_b32 s0, s0
	s_cbranch_execz .LBB0_9
; %bb.8:
	flat_load_b64 v[7:8], v[2:3] offset:96
	v_mov_b32_e32 v25, 0
	v_mov_b32_e32 v26, 0
	s_waitcnt vmcnt(0) lgkmcnt(0)
	v_lshlrev_b64 v[17:18], 3, v[7:8]
	v_dual_mov_b32 v8, v6 :: v_dual_mov_b32 v7, v5
.LBB0_9:
	s_or_b32 exec_lo, exec_lo, s0
	s_load_b32 s0, s[8:9], 0x0
	v_mov_b32_e32 v15, 0
	flat_load_b64 v[66:67], v[2:3] offset:104
	s_mov_b32 s2, 0
	s_waitcnt lgkmcnt(0)
	s_cmp_lt_u32 s12, s0
	s_cselect_b32 s0, 12, 18
	s_delay_alu instid0(SALU_CYCLE_1)
	s_add_u32 s0, s8, s0
	s_addc_u32 s1, s9, 0
	s_clause 0x2
	flat_load_b128 v[9:12], v[2:3] offset:16
	flat_load_u16 v14, v[2:3] offset:8
	flat_load_b32 v13, v[2:3] offset:4
	global_load_u16 v18, v15, s[0:1]
	s_cbranch_execnz .LBB0_17
; %bb.10:
	ds_load_b32 v2, v0
	s_waitcnt vmcnt(1) lgkmcnt(1)
	v_lshrrev_b64 v[13:14], 31, v[13:14]
	s_delay_alu instid0(VALU_DEP_1)
	v_and_b32_e32 v14, 3, v13
	v_and_b32_e32 v13, 31, v4
	s_waitcnt lgkmcnt(0)
	v_cmp_gt_i32_e32 vcc_lo, 0, v2
	v_readfirstlane_b32 s1, v2
	s_cbranch_vccnz .LBB0_19
; %bb.11:
	v_cmp_eq_u32_e32 vcc_lo, 0, v13
	s_cbranch_execnz .LBB0_23
; %bb.12:
	ds_load_b64 v[15:16], v0
	v_mov_b32_e32 v3, 0
	v_and_b32_e32 v21, 0xffff, v14
	s_mov_b32 s2, 1
	s_delay_alu instid0(VALU_DEP_2) | instskip(SKIP_1) | instid1(VALU_DEP_1)
	v_lshlrev_b64 v[2:3], 3, v[2:3]
	s_waitcnt lgkmcnt(0)
	v_add_co_u32 v2, s0, v15, v2
	s_delay_alu instid0(VALU_DEP_1)
	v_add_co_ci_u32_e64 v3, s0, v16, v3, s0
	flat_load_b64 v[2:3], v[2:3]
	s_waitcnt vmcnt(0) lgkmcnt(0)
	v_mad_u64_u32 v[15:16], null, 0xa8, v21, v[2:3]
	s_clause 0x1
	flat_load_b64 v[29:30], v[15:16] offset:504
	flat_load_b64 v[32:33], v[15:16] offset:608
	v_add_co_u32 v2, s0, 0x1f8, v15
	s_delay_alu instid0(VALU_DEP_1) | instskip(NEXT) | instid1(VALU_DEP_1)
	v_add_co_ci_u32_e64 v3, s0, 0, v16, s0
	v_dual_cndmask_b32 v27, 0, v2 :: v_dual_cndmask_b32 v28, 0, v3
	s_cbranch_execz .LBB0_20
.LBB0_13:
	s_trap 2
	s_sendmsg_rtn_b32 s0, sendmsg(MSG_RTN_GET_DOORBELL)
	s_mov_b32 ttmp2, m0
	s_waitcnt lgkmcnt(0)
	s_and_b32 s0, s0, 0x3ff
	s_delay_alu instid0(SALU_CYCLE_1) | instskip(NEXT) | instid1(SALU_CYCLE_1)
	s_bitset1_b32 s0, 10
	s_mov_b32 m0, s0
	s_sendmsg sendmsg(MSG_INTERRUPT)
	s_mov_b32 m0, ttmp2
.LBB0_14:                               ; =>This Inner Loop Header: Depth=1
	s_sethalt 5
	s_branch .LBB0_14
.LBB0_15:
	s_trap 2
	s_sendmsg_rtn_b32 s0, sendmsg(MSG_RTN_GET_DOORBELL)
	s_mov_b32 ttmp2, m0
	s_waitcnt lgkmcnt(0)
	s_and_b32 s0, s0, 0x3ff
	s_delay_alu instid0(SALU_CYCLE_1) | instskip(NEXT) | instid1(SALU_CYCLE_1)
	s_bitset1_b32 s0, 10
	s_mov_b32 m0, s0
	s_sendmsg sendmsg(MSG_INTERRUPT)
	s_mov_b32 m0, ttmp2
.LBB0_16:                               ; =>This Inner Loop Header: Depth=1
	s_sethalt 5
	s_branch .LBB0_16
.LBB0_17:
	s_trap 2
	s_sendmsg_rtn_b32 s0, sendmsg(MSG_RTN_GET_DOORBELL)
	s_mov_b32 ttmp2, m0
	s_waitcnt lgkmcnt(0)
	s_and_b32 s0, s0, 0x3ff
	s_delay_alu instid0(SALU_CYCLE_1) | instskip(NEXT) | instid1(SALU_CYCLE_1)
	s_bitset1_b32 s0, 10
	s_mov_b32 m0, s0
	s_sendmsg sendmsg(MSG_INTERRUPT)
	s_mov_b32 m0, ttmp2
.LBB0_18:                               ; =>This Inner Loop Header: Depth=1
	s_sethalt 5
	s_branch .LBB0_18
.LBB0_19:
	v_mov_b32_e32 v27, 0
	v_mov_b32_e32 v28, 0
                                        ; implicit-def: $vgpr32_vgpr33
                                        ; implicit-def: $vgpr29_vgpr30
	s_cbranch_execnz .LBB0_13
.LBB0_20:
	ds_load_b32 v2, v0
	v_mov_b32_e32 v36, 0
	v_mov_b32_e32 v37, 0
	s_waitcnt lgkmcnt(0)
	v_cmp_gt_i32_e32 vcc_lo, 0, v2
	s_cbranch_vccnz .LBB0_25
; %bb.21:
	s_cbranch_execnz .LBB0_325
; %bb.22:
	ds_load_b64 v[15:16], v0
	v_mov_b32_e32 v3, 0
	s_delay_alu instid0(VALU_DEP_1) | instskip(SKIP_1) | instid1(VALU_DEP_1)
	v_lshlrev_b64 v[2:3], 3, v[2:3]
	s_waitcnt lgkmcnt(0)
	v_add_co_u32 v2, vcc_lo, v15, v2
	s_delay_alu instid0(VALU_DEP_2)
	v_add_co_ci_u32_e32 v3, vcc_lo, v16, v3, vcc_lo
	v_and_b32_e32 v16, 0xffff, v14
	v_cmp_eq_u32_e32 vcc_lo, 0, v13
	flat_load_b64 v[2:3], v[2:3]
	s_waitcnt vmcnt(0) lgkmcnt(0)
	v_mad_u64_u32 v[14:15], null, 0xa8, v16, v[2:3]
	s_clause 0x1
	flat_load_b64 v[38:39], v[14:15]
	flat_load_b64 v[21:22], v[14:15] offset:104
	v_dual_cndmask_b32 v35, 0, v15 :: v_dual_cndmask_b32 v34, 0, v14
	s_branch .LBB0_26
.LBB0_23:
	s_trap 2
	s_sendmsg_rtn_b32 s0, sendmsg(MSG_RTN_GET_DOORBELL)
	s_mov_b32 ttmp2, m0
	s_waitcnt lgkmcnt(0)
	s_and_b32 s0, s0, 0x3ff
	s_delay_alu instid0(SALU_CYCLE_1) | instskip(NEXT) | instid1(SALU_CYCLE_1)
	s_bitset1_b32 s0, 10
	s_mov_b32 m0, s0
	s_sendmsg sendmsg(MSG_INTERRUPT)
	s_mov_b32 m0, ttmp2
.LBB0_24:                               ; =>This Inner Loop Header: Depth=1
	s_sethalt 5
	s_branch .LBB0_24
.LBB0_25:
	s_delay_alu instid0(VALU_DEP_2)
	v_dual_mov_b32 v34, v36 :: v_dual_mov_b32 v35, v37
                                        ; implicit-def: $vgpr21_vgpr22
                                        ; implicit-def: $vgpr38_vgpr39
.LBB0_26:
	v_subrev_nc_u32_e32 v2, 32, v1
	v_cmp_gt_u32_e64 s0, s2, v13
                                        ; implicit-def: $vgpr48_vgpr49
	s_delay_alu instid0(VALU_DEP_2) | instskip(NEXT) | instid1(VALU_DEP_2)
	v_cmp_le_i32_e32 vcc_lo, v2, v4
	s_and_b32 s11, vcc_lo, s0
	s_delay_alu instid0(SALU_CYCLE_1)
	s_and_saveexec_b32 s0, s11
; %bb.27:
	s_clause 0x1
	flat_load_b64 v[36:37], v[27:28] offset:56
	flat_load_b64 v[48:49], v[27:28] offset:104
; %bb.28:
	s_or_b32 exec_lo, exec_lo, s0
	v_mov_b32_e32 v2, 0
	v_mov_b32_e32 v3, 0
	v_cmp_gt_i32_e64 s0, s2, v4
                                        ; implicit-def: $vgpr52_vgpr53
	s_delay_alu instid0(VALU_DEP_2) | instskip(SKIP_1) | instid1(VALU_DEP_3)
	v_dual_mov_b32 v14, v3 :: v_dual_mov_b32 v13, v2
	v_dual_mov_b32 v51, v3 :: v_dual_mov_b32 v50, v2
	s_and_saveexec_b32 s2, s0
	s_cbranch_execz .LBB0_30
; %bb.29:
	flat_load_b64 v[50:51], v[34:35] offset:56
	s_waitcnt vmcnt(0) lgkmcnt(0)
	flat_load_b64 v[52:53], v[50:51] glc dlc
	s_waitcnt vmcnt(0)
	flat_load_b128 v[13:16], v[34:35] offset:96
.LBB0_30:
	s_or_b32 exec_lo, exec_lo, s2
	s_waitcnt vmcnt(0)
	v_and_b32_e32 v116, 0xffff, v18
	s_mov_b32 s12, exec_lo
	v_cmpx_ne_u64_e32 0, v[7:8]
	s_cbranch_execz .LBB0_313
; %bb.31:
	v_dual_mov_b32 v55, 0 :: v_dual_and_b32 v64, 0xfffff8, v17
	v_add_co_u32 v2, vcc_lo, v19, v5
	s_ashr_i32 s2, s1, 31
	s_delay_alu instid0(VALU_DEP_2)
	v_dual_mov_b32 v65, v55 :: v_dual_lshlrev_b32 v70, 2, v4
	v_add_co_ci_u32_e32 v3, vcc_lo, v20, v6, vcc_lo
	s_lshr_b32 s2, s2, 29
	s_ashr_i32 s15, s14, 31
	v_lshlrev_b32_e32 v117, 16, v66
	v_add_co_u32 v66, vcc_lo, v2, v54
	v_ashrrev_i32_e32 v71, 31, v70
	s_add_i32 s1, s1, s2
	s_lshl_b64 s[2:3], s[14:15], 2
	v_ashrrev_i32_e32 v2, 31, v1
	v_add_co_ci_u32_e32 v67, vcc_lo, v3, v0, vcc_lo
	v_add_co_u32 v0, vcc_lo, v23, s2
	v_add_co_ci_u32_e32 v3, vcc_lo, s3, v24, vcc_lo
	v_lshlrev_b64 v[82:83], 1, v[70:71]
	v_lshrrev_b32_e32 v5, 27, v2
	s_delay_alu instid0(VALU_DEP_4) | instskip(NEXT) | instid1(VALU_DEP_4)
	v_add_co_u32 v68, vcc_lo, v0, -4
	v_add_co_ci_u32_e32 v69, vcc_lo, -1, v3, vcc_lo
	s_delay_alu instid0(VALU_DEP_3)
	v_add_nc_u32_e32 v0, v1, v5
	v_add_co_u32 v119, vcc_lo, v11, v82
	v_lshlrev_b64 v[5:6], 1, v[25:26]
	v_dual_mov_b32 v144, 1 :: v_dual_and_b32 v3, 31, v31
	v_add_co_ci_u32_e32 v128, vcc_lo, v12, v83, vcc_lo
	v_add_co_u32 v129, vcc_lo, v9, v82
	v_add_co_ci_u32_e32 v130, vcc_lo, v10, v83, vcc_lo
	v_ashrrev_i32_e32 v118, 5, v0
	v_cmp_eq_u32_e64 s5, 0, v3
	v_and_b32_e32 v54, 1, v9
	v_lshlrev_b32_e32 v0, 1, v17
	v_lshlrev_b32_e32 v3, 1, v25
	v_add_co_u32 v9, vcc_lo, v119, v5
	v_ashrrev_i32_e32 v5, 31, v4
	v_dual_mov_b32 v145, 0 :: v_dual_lshlrev_b32 v80, 2, v1
	v_and_b32_e32 v131, 0x1fffff0, v0
	v_lshl_add_u32 v0, v4, 3, v3
	v_lshlrev_b32_e32 v3, 4, v17
	v_lshlrev_b64 v[17:18], 4, v[4:5]
	v_ashrrev_i32_e32 v81, 31, v80
	v_add_co_ci_u32_e32 v10, vcc_lo, v128, v6, vcc_lo
	v_mov_b32_e32 v5, 0
	v_mov_b32_e32 v6, 0
	s_ashr_i32 s4, s1, 3
	v_lshlrev_b64 v[86:87], 1, v[80:81]
	v_and_b32_e32 v81, 0xfffff80, v3
	s_waitcnt lgkmcnt(1)
	v_add_co_u32 v134, vcc_lo, v38, v17
	v_lshlrev_b64 v[96:97], 4, v[1:2]
	v_mov_b32_e32 v2, v5
	s_ashr_i32 s13, s1, 7
	v_cmp_ne_u64_e64 s1, 0, v[50:51]
	s_waitcnt lgkmcnt(0)
	v_cmp_ne_u64_e64 s2, 0, v[13:14]
	v_cmp_ne_u64_e64 s6, 0, v[36:37]
	v_lshlrev_b64 v[84:85], 1, v[66:67]
	v_mov_b32_e32 v3, v6
	v_cmp_eq_u64_e64 s7, 0, v[54:55]
	s_and_b32 s15, s4, -16
	v_cmp_ne_u32_e64 s3, 32, v1
	v_cmp_ne_u32_e64 s4, v116, v1
	v_ashrrev_i32_e32 v71, 31, v118
	v_add_lshl_u32 v0, v0, v11, 3
	v_lshlrev_b32_e32 v132, 4, v66
	v_lshlrev_b32_e32 v133, 6, v1
	v_add_co_ci_u32_e32 v135, vcc_lo, v39, v18, vcc_lo
	s_cmp_gt_i32 s14, 2
	s_mov_b32 s16, 0
	s_cselect_b32 s17, -1, 0
.LBB0_32:                               ; =>This Loop Header: Depth=1
                                        ;     Child Loop BB0_39 Depth 2
                                        ;     Child Loop BB0_59 Depth 2
	;; [unrolled: 1-line block ×5, first 2 shown]
                                        ;       Child Loop BB0_108 Depth 3
                                        ;       Child Loop BB0_128 Depth 3
	;; [unrolled: 1-line block ×3, first 2 shown]
                                        ;         Child Loop BB0_152 Depth 4
                                        ;       Child Loop BB0_204 Depth 3
                                        ;       Child Loop BB0_221 Depth 3
                                        ;     Child Loop BB0_226 Depth 2
                                        ;       Child Loop BB0_234 Depth 3
                                        ;     Child Loop BB0_296 Depth 2
	s_waitcnt vmcnt(0) lgkmcnt(0)
	flat_load_b32 v19, v[68:69]
	v_sub_co_u32 v17, vcc_lo, v7, v5
	v_sub_co_ci_u32_e32 v18, vcc_lo, v8, v6, vcc_lo
	s_delay_alu instid0(VALU_DEP_1) | instskip(SKIP_1) | instid1(VALU_DEP_1)
	v_cmp_lt_u64_e32 vcc_lo, v[64:65], v[17:18]
	v_cndmask_b32_e32 v20, v17, v64, vcc_lo
	v_lshl_add_u32 v17, v20, 2, 12
	s_delay_alu instid0(VALU_DEP_1)
	v_and_b32_e32 v147, 0x7fffff0, v17
	s_and_saveexec_b32 s8, s1
	s_cbranch_execz .LBB0_50
; %bb.33:                               ;   in Loop: Header=BB0_32 Depth=1
	v_add_co_u32 v17, vcc_lo, v15, 1
	v_add_co_ci_u32_e32 v18, vcc_lo, 0, v16, vcc_lo
	v_add_co_u32 v98, vcc_lo, v52, 8
	v_add_co_ci_u32_e32 v99, vcc_lo, 0, v53, vcc_lo
	s_mov_b32 s9, exec_lo
	s_delay_alu instid0(VALU_DEP_1)
	v_cmpx_lt_u64_e64 v[98:99], v[17:18]
	s_cbranch_execz .LBB0_47
; %bb.34:                               ;   in Loop: Header=BB0_32 Depth=1
	s_sleep 1
	flat_load_b64 v[52:53], v[50:51] glc
	v_cmp_eq_u32_e32 vcc_lo, 0, v145
	s_and_saveexec_b32 s10, vcc_lo
	s_cbranch_execz .LBB0_46
; %bb.35:                               ;   in Loop: Header=BB0_32 Depth=1
	v_cndmask_b32_e64 v16, 0, 1, vcc_lo
	s_mov_b32 s18, 0
                                        ; implicit-def: $sgpr19
	s_branch .LBB0_39
.LBB0_36:                               ;   in Loop: Header=BB0_39 Depth=2
	s_or_b32 exec_lo, exec_lo, s22
	s_delay_alu instid0(SALU_CYCLE_1)
	s_or_not1_b32 s22, s23, exec_lo
.LBB0_37:                               ;   in Loop: Header=BB0_39 Depth=2
	s_or_b32 exec_lo, exec_lo, s21
	s_xor_b32 s21, s22, -1
	s_and_not1_b32 s19, s19, exec_lo
	s_and_b32 s21, s21, exec_lo
	s_delay_alu instid0(SALU_CYCLE_1)
	s_or_b32 s19, s19, s21
.LBB0_38:                               ;   in Loop: Header=BB0_39 Depth=2
	s_or_b32 exec_lo, exec_lo, s20
	s_delay_alu instid0(SALU_CYCLE_1) | instskip(NEXT) | instid1(SALU_CYCLE_1)
	s_and_b32 s20, exec_lo, s19
	s_or_b32 s18, s20, s18
	s_delay_alu instid0(SALU_CYCLE_1)
	s_and_not1_b32 exec_lo, exec_lo, s18
	s_cbranch_execz .LBB0_45
.LBB0_39:                               ;   Parent Loop BB0_32 Depth=1
                                        ; =>  This Inner Loop Header: Depth=2
	s_waitcnt vmcnt(0) lgkmcnt(0)
	v_add_co_u32 v98, vcc_lo, v52, 8
	v_add_co_ci_u32_e32 v99, vcc_lo, 0, v53, vcc_lo
	v_mov_b32_e32 v145, 0
	s_or_b32 s19, s19, exec_lo
	s_mov_b32 s20, exec_lo
	s_delay_alu instid0(VALU_DEP_2)
	v_cmpx_lt_u64_e64 v[98:99], v[17:18]
	s_cbranch_execz .LBB0_38
; %bb.40:                               ;   in Loop: Header=BB0_39 Depth=2
	s_sleep 1
	flat_load_b64 v[52:53], v[50:51] glc
	v_dual_mov_b32 v145, 0 :: v_dual_add_nc_u32 v16, 1, v16
	s_mov_b32 s22, -1
	s_mov_b32 s21, exec_lo
	s_delay_alu instid0(VALU_DEP_1)
	v_cmpx_eq_u32_e32 0x2710, v16
	s_cbranch_execz .LBB0_37
; %bb.41:                               ;   in Loop: Header=BB0_39 Depth=2
	s_cbranch_execnz .LBB0_331
; %bb.42:                               ;   in Loop: Header=BB0_39 Depth=2
	ds_load_b64 v[98:99], v0
	v_dual_mov_b32 v16, 0 :: v_dual_mov_b32 v145, 0
	s_mov_b32 s23, -1
	s_mov_b32 s22, exec_lo
	s_waitcnt vmcnt(0) lgkmcnt(0)
	s_waitcnt_vscnt null, 0x0
	flat_load_b32 v54, v[98:99] glc
	s_waitcnt vmcnt(0) lgkmcnt(0)
	buffer_gl1_inv
	buffer_gl0_inv
	v_cmpx_ne_u32_e32 0, v54
	s_cbranch_execz .LBB0_36
; %bb.43:                               ;   in Loop: Header=BB0_39 Depth=2
	ds_store_b32 v0, v54
	s_cbranch_execnz .LBB0_356
; %bb.44:                               ;   in Loop: Header=BB0_39 Depth=2
	v_mov_b32_e32 v145, 1
	s_xor_b32 s23, exec_lo, -1
	s_branch .LBB0_36
.LBB0_45:                               ;   in Loop: Header=BB0_32 Depth=1
	s_or_b32 exec_lo, exec_lo, s18
.LBB0_46:                               ;   in Loop: Header=BB0_32 Depth=1
	s_delay_alu instid0(SALU_CYCLE_1)
	s_or_b32 exec_lo, exec_lo, s10
.LBB0_47:                               ;   in Loop: Header=BB0_32 Depth=1
	s_delay_alu instid0(SALU_CYCLE_1)
	s_or_b32 exec_lo, exec_lo, s9
	s_and_saveexec_b32 s9, s2
	s_cbranch_execz .LBB0_49
; %bb.48:                               ;   in Loop: Header=BB0_32 Depth=1
	v_and_b32_e32 v54, 0x7ffffff8, v15
	v_and_b32_e32 v16, 7, v15
	s_delay_alu instid0(VALU_DEP_2) | instskip(NEXT) | instid1(VALU_DEP_2)
	v_cmp_eq_u64_e32 vcc_lo, 0x7ffffff8, v[54:55]
	v_mad_u64_u32 v[98:99], null, v16, 24, v[13:14]
	v_cndmask_b32_e64 v15, v147, s15, vcc_lo
	s_delay_alu instid0(VALU_DEP_1)
	v_ashrrev_i32_e32 v16, 31, v15
	flat_store_b64 v[98:99], v[15:16] offset:8 dlc
	s_waitcnt_vscnt null, 0x0
.LBB0_49:                               ;   in Loop: Header=BB0_32 Depth=1
	s_or_b32 exec_lo, exec_lo, s9
	v_dual_mov_b32 v15, v17 :: v_dual_mov_b32 v16, v18
.LBB0_50:                               ;   in Loop: Header=BB0_32 Depth=1
	s_or_b32 exec_lo, exec_lo, s8
	s_and_saveexec_b32 s8, s3
	s_cbranch_execz .LBB0_72
; %bb.51:                               ;   in Loop: Header=BB0_32 Depth=1
	s_and_saveexec_b32 s9, s4
	s_delay_alu instid0(SALU_CYCLE_1)
	s_xor_b32 s9, exec_lo, s9
	s_cbranch_execz .LBB0_69
; %bb.52:                               ;   in Loop: Header=BB0_32 Depth=1
	s_and_saveexec_b32 s10, s5
	s_cbranch_execz .LBB0_68
; %bb.53:                               ;   in Loop: Header=BB0_32 Depth=1
	s_mov_b32 s19, exec_lo
	s_mov_b32 s18, exec_lo
	v_mbcnt_lo_u32_b32 v17, s19, 0
	s_waitcnt vmcnt(0) lgkmcnt(0)
	s_waitcnt_vscnt null, 0x0
	buffer_gl1_inv
	buffer_gl0_inv
	v_cmpx_eq_u32_e32 0, v17
	s_cbranch_execz .LBB0_55
; %bb.54:                               ;   in Loop: Header=BB0_32 Depth=1
	s_bcnt1_i32_b32 s19, s19
	s_delay_alu instid0(SALU_CYCLE_1)
	v_mov_b32_e32 v54, s19
	ds_add_u64 v0, v[54:55]
	s_cbranch_execnz .LBB0_350
.LBB0_55:                               ;   in Loop: Header=BB0_32 Depth=1
	s_or_b32 exec_lo, exec_lo, s18
	s_cbranch_execnz .LBB0_337
; %bb.56:                               ;   in Loop: Header=BB0_32 Depth=1
	ds_load_b64 v[17:18], v0
	v_add_co_u32 v2, vcc_lo, v2, v118
	v_add_co_ci_u32_e32 v3, vcc_lo, v3, v71, vcc_lo
	s_mov_b32 s18, exec_lo
	s_waitcnt lgkmcnt(0)
	s_delay_alu instid0(VALU_DEP_1)
	v_cmpx_lt_u64_e64 v[17:18], v[2:3]
	s_cbranch_execz .LBB0_67
; %bb.57:                               ;   in Loop: Header=BB0_32 Depth=1
	s_mov_b32 s19, 0
	s_mov_b32 s22, 0
                                        ; implicit-def: $sgpr20
                                        ; implicit-def: $sgpr21
	s_branch .LBB0_59
.LBB0_58:                               ;   in Loop: Header=BB0_59 Depth=2
	s_or_b32 exec_lo, exec_lo, s25
	s_delay_alu instid0(SALU_CYCLE_1) | instskip(NEXT) | instid1(SALU_CYCLE_1)
	s_and_b32 s23, exec_lo, s24
	s_or_b32 s19, s23, s19
	s_and_not1_b32 s20, s20, exec_lo
	s_and_b32 s23, s21, exec_lo
	s_delay_alu instid0(SALU_CYCLE_1)
	s_or_b32 s20, s20, s23
	s_and_not1_b32 exec_lo, exec_lo, s19
	s_cbranch_execz .LBB0_65
.LBB0_59:                               ;   Parent Loop BB0_32 Depth=1
                                        ; =>  This Inner Loop Header: Depth=2
	s_add_i32 s22, s22, 1
                                        ; implicit-def: $sgpr24
	s_delay_alu instid0(SALU_CYCLE_1) | instskip(SKIP_1) | instid1(SALU_CYCLE_1)
	s_cmpk_lg_i32 s22, 0x2710
	s_cselect_b32 s23, -1, 0
	s_and_b32 vcc_lo, exec_lo, s23
	s_cbranch_vccz .LBB0_63
.LBB0_60:                               ;   in Loop: Header=BB0_59 Depth=2
	s_and_not1_b32 s21, s21, exec_lo
	s_and_b32 s25, s24, exec_lo
	s_mov_b32 s24, -1
	s_or_b32 s21, s21, s25
	s_and_saveexec_b32 s25, s23
	s_cbranch_execz .LBB0_58
; %bb.61:                               ;   in Loop: Header=BB0_59 Depth=2
	s_sleep 1
	s_cbranch_execnz .LBB0_364
; %bb.62:                               ;   in Loop: Header=BB0_59 Depth=2
	ds_load_b64 v[17:18], v0
	s_and_not1_b32 s21, s21, exec_lo
	s_waitcnt lgkmcnt(0)
	v_cmp_ge_u64_e32 vcc_lo, v[17:18], v[2:3]
	s_or_not1_b32 s24, vcc_lo, exec_lo
	s_branch .LBB0_58
.LBB0_63:                               ;   in Loop: Header=BB0_59 Depth=2
	s_cbranch_execnz .LBB0_372
; %bb.64:                               ;   in Loop: Header=BB0_59 Depth=2
	ds_load_b64 v[17:18], v0
	s_and_not1_b32 s23, s23, exec_lo
	s_mov_b32 s22, 0
	s_mov_b32 s24, -1
	s_waitcnt lgkmcnt(0)
	flat_load_b32 v17, v[17:18] glc
	s_waitcnt vmcnt(0) lgkmcnt(0)
	buffer_gl1_inv
	buffer_gl0_inv
	v_cmp_eq_u32_e32 vcc_lo, 0, v17
	s_and_b32 s25, vcc_lo, exec_lo
	s_delay_alu instid0(SALU_CYCLE_1)
	s_or_b32 s23, s23, s25
	s_branch .LBB0_60
.LBB0_65:                               ;   in Loop: Header=BB0_32 Depth=1
	s_or_b32 exec_lo, exec_lo, s19
	s_and_saveexec_b32 s19, s20
	s_delay_alu instid0(SALU_CYCLE_1)
	s_xor_b32 s19, exec_lo, s19
	s_cbranch_execz .LBB0_67
; %bb.66:                               ;   in Loop: Header=BB0_32 Depth=1
	ds_store_b32 v0, v144
	s_cbranch_execnz .LBB0_397
.LBB0_67:                               ;   in Loop: Header=BB0_32 Depth=1
	s_or_b32 exec_lo, exec_lo, s18
	;;#ASMSTART
	s_wakeup
	;;#ASMEND
.LBB0_68:                               ;   in Loop: Header=BB0_32 Depth=1
	s_or_b32 exec_lo, exec_lo, s10
.LBB0_69:                               ;   in Loop: Header=BB0_32 Depth=1
	s_and_not1_saveexec_b32 s9, s9
	s_cbranch_execz .LBB0_71
; %bb.70:                               ;   in Loop: Header=BB0_32 Depth=1
	s_waitcnt vmcnt(0) lgkmcnt(0)
	s_waitcnt_vscnt null, 0x0
	buffer_gl1_inv
	buffer_gl0_inv
	s_barrier
.LBB0_71:                               ;   in Loop: Header=BB0_32 Depth=1
	s_or_b32 exec_lo, exec_lo, s9
.LBB0_72:                               ;   in Loop: Header=BB0_32 Depth=1
	s_delay_alu instid0(SALU_CYCLE_1) | instskip(SKIP_2) | instid1(VALU_DEP_2)
	s_or_b32 exec_lo, exec_lo, s8
	v_sub_nc_u32_e32 v146, v20, v70
	v_mov_b32_e32 v98, v4
	v_cmp_lt_i32_e64 s8, 0, v146
	s_delay_alu instid0(VALU_DEP_1)
	s_and_saveexec_b32 s10, s8
	s_cbranch_execz .LBB0_96
; %bb.73:                               ;   in Loop: Header=BB0_32 Depth=1
	v_dual_mov_b32 v98, v21 :: v_dual_and_b32 v17, 7, v21
	s_waitcnt vmcnt(0) lgkmcnt(0)
	v_ashrrev_i32_e32 v20, 31, v19
	v_mad_u64_u32 v[99:100], null, v84, v19, v[9:10]
	s_delay_alu instid0(VALU_DEP_3) | instskip(SKIP_1) | instid1(VALU_DEP_4)
	v_mul_lo_u32 v17, v17, s13
	v_mul_lo_u32 v103, v85, v19
	v_mul_lo_u32 v112, v84, v20
	v_mad_u64_u32 v[101:102], null, v132, v19, v[0:1]
	v_add_co_u32 v114, vcc_lo, 0, 0
	v_mov_b32_e32 v54, v146
	v_ashrrev_i32_e32 v18, 31, v17
	s_mov_b32 s18, 0
	v_add3_u32 v100, v103, v100, v112
	s_delay_alu instid0(VALU_DEP_2) | instskip(SKIP_2) | instid1(VALU_DEP_3)
	v_lshlrev_b64 v[19:20], 4, v[17:18]
	v_add_co_ci_u32_e32 v18, vcc_lo, 1, v98, vcc_lo
	v_mov_b32_e32 v98, v4
	v_add_co_u32 v102, vcc_lo, v134, v19
	s_delay_alu instid0(VALU_DEP_4)
	v_add_co_ci_u32_e32 v103, vcc_lo, v135, v20, vcc_lo
	s_branch .LBB0_75
.LBB0_74:                               ;   in Loop: Header=BB0_75 Depth=2
	s_or_b32 exec_lo, exec_lo, s9
	v_and_b32_e32 v19, 0xffff0000, v19
	v_lshrrev_b32_e32 v17, 16, v17
	v_lshrrev_b32_e32 v112, 16, v20
	v_dual_mov_b32 v20, v18 :: v_dual_and_b32 v113, 0xffff0000, v113
	v_sub_nc_u32_e32 v54, v54, v80
	s_delay_alu instid0(VALU_DEP_4) | instskip(SKIP_1) | instid1(VALU_DEP_4)
	v_or3_b32 v17, v19, v17, v114
	v_add_co_u32 v99, vcc_lo, v99, v86
	v_or3_b32 v19, v113, v112, v114
	v_add_co_ci_u32_e32 v100, vcc_lo, v100, v87, vcc_lo
	v_cmp_gt_i32_e32 vcc_lo, 1, v54
	v_add_nc_u32_e32 v98, v98, v1
	global_store_b128 v[102:103], v[17:20], off
	v_add_co_u32 v102, s9, v102, v96
	v_add_nc_u32_e32 v101, v101, v133
	v_add_co_ci_u32_e64 v103, s9, v103, v97, s9
	s_or_b32 s18, vcc_lo, s18
	s_delay_alu instid0(SALU_CYCLE_1)
	s_and_not1_b32 exec_lo, exec_lo, s18
	s_cbranch_execz .LBB0_95
.LBB0_75:                               ;   Parent Loop BB0_32 Depth=1
                                        ; =>  This Inner Loop Header: Depth=2
	v_dual_mov_b32 v20, v100 :: v_dual_and_b32 v19, -4, v99
	v_min_u32_e32 v112, 4, v54
	v_dual_mov_b32 v148, 0 :: v_dual_and_b32 v113, 3, v99
	v_mov_b32_e32 v115, 0
	flat_load_b32 v17, v[19:20] glc
	v_lshlrev_b32_e32 v112, 1, v112
	s_delay_alu instid0(VALU_DEP_1) | instskip(NEXT) | instid1(VALU_DEP_1)
	v_add_co_u32 v112, s9, v113, v112
	v_add_co_ci_u32_e64 v113, null, 0, 0, s9
	s_mov_b32 s9, exec_lo
	s_delay_alu instid0(VALU_DEP_1)
	v_cmpx_lt_u64_e32 4, v[112:113]
	s_cbranch_execz .LBB0_77
; %bb.76:                               ;   in Loop: Header=BB0_75 Depth=2
	flat_load_b32 v148, v[19:20] offset:4 glc
.LBB0_77:                               ;   in Loop: Header=BB0_75 Depth=2
	s_or_b32 exec_lo, exec_lo, s9
	s_delay_alu instid0(SALU_CYCLE_1)
	s_mov_b32 s9, exec_lo
	v_cmpx_lt_u64_e32 8, v[112:113]
	s_cbranch_execz .LBB0_79
; %bb.78:                               ;   in Loop: Header=BB0_75 Depth=2
	flat_load_b32 v115, v[19:20] offset:8 glc
.LBB0_79:                               ;   in Loop: Header=BB0_75 Depth=2
	s_or_b32 exec_lo, exec_lo, s9
	s_waitcnt vmcnt(0) lgkmcnt(0)
	v_alignbit_b32 v19, v148, v17, v101
	s_delay_alu instid0(VALU_DEP_1) | instskip(NEXT) | instid1(VALU_DEP_1)
	v_lshlrev_b32_e32 v17, 16, v19
	v_mul_f32_e32 v20, v117, v17
	s_delay_alu instid0(VALU_DEP_1) | instskip(NEXT) | instid1(VALU_DEP_1)
	v_and_b32_e32 v17, 0x7f800000, v20
	v_cmp_ne_u32_e32 vcc_lo, 0x7f800000, v17
                                        ; implicit-def: $vgpr17
	s_and_saveexec_b32 s9, vcc_lo
	s_delay_alu instid0(SALU_CYCLE_1)
	s_xor_b32 s9, exec_lo, s9
; %bb.80:                               ;   in Loop: Header=BB0_75 Depth=2
	v_bfe_u32 v17, v20, 16, 1
	s_delay_alu instid0(VALU_DEP_1)
	v_add3_u32 v17, v20, v17, 0x7fff
                                        ; implicit-def: $vgpr20
; %bb.81:                               ;   in Loop: Header=BB0_75 Depth=2
	s_and_not1_saveexec_b32 s9, s9
; %bb.82:                               ;   in Loop: Header=BB0_75 Depth=2
	v_and_b32_e32 v17, 0xffff, v20
	v_or_b32_e32 v112, 0x10000, v20
	s_delay_alu instid0(VALU_DEP_2) | instskip(NEXT) | instid1(VALU_DEP_2)
	v_cmp_eq_u32_e32 vcc_lo, 0, v17
	v_cndmask_b32_e32 v17, v112, v20, vcc_lo
; %bb.83:                               ;   in Loop: Header=BB0_75 Depth=2
	s_or_b32 exec_lo, exec_lo, s9
	v_and_b32_e32 v19, 0xffff0000, v19
	s_delay_alu instid0(VALU_DEP_1) | instskip(NEXT) | instid1(VALU_DEP_1)
	v_mul_f32_e32 v20, v117, v19
	v_and_b32_e32 v19, 0x7f800000, v20
	s_delay_alu instid0(VALU_DEP_1) | instskip(SKIP_1) | instid1(SALU_CYCLE_1)
	v_cmp_ne_u32_e32 vcc_lo, 0x7f800000, v19
                                        ; implicit-def: $vgpr19
	s_and_saveexec_b32 s9, vcc_lo
	s_xor_b32 s9, exec_lo, s9
; %bb.84:                               ;   in Loop: Header=BB0_75 Depth=2
	v_bfe_u32 v19, v20, 16, 1
	s_delay_alu instid0(VALU_DEP_1)
	v_add3_u32 v19, v20, v19, 0x7fff
                                        ; implicit-def: $vgpr20
; %bb.85:                               ;   in Loop: Header=BB0_75 Depth=2
	s_and_not1_saveexec_b32 s9, s9
; %bb.86:                               ;   in Loop: Header=BB0_75 Depth=2
	v_and_b32_e32 v19, 0xffff, v20
	v_or_b32_e32 v112, 0x10000, v20
	s_delay_alu instid0(VALU_DEP_2) | instskip(NEXT) | instid1(VALU_DEP_2)
	v_cmp_eq_u32_e32 vcc_lo, 0, v19
	v_cndmask_b32_e32 v19, v112, v20, vcc_lo
; %bb.87:                               ;   in Loop: Header=BB0_75 Depth=2
	s_or_b32 exec_lo, exec_lo, s9
	v_alignbit_b32 v112, v115, v148, v101
	s_delay_alu instid0(VALU_DEP_1) | instskip(NEXT) | instid1(VALU_DEP_1)
	v_lshlrev_b32_e32 v20, 16, v112
	v_mul_f32_e32 v113, v117, v20
	s_delay_alu instid0(VALU_DEP_1) | instskip(NEXT) | instid1(VALU_DEP_1)
	v_and_b32_e32 v20, 0x7f800000, v113
	v_cmp_ne_u32_e32 vcc_lo, 0x7f800000, v20
                                        ; implicit-def: $vgpr20
	s_and_saveexec_b32 s9, vcc_lo
	s_delay_alu instid0(SALU_CYCLE_1)
	s_xor_b32 s9, exec_lo, s9
; %bb.88:                               ;   in Loop: Header=BB0_75 Depth=2
	v_bfe_u32 v20, v113, 16, 1
	s_delay_alu instid0(VALU_DEP_1)
	v_add3_u32 v20, v113, v20, 0x7fff
                                        ; implicit-def: $vgpr113
; %bb.89:                               ;   in Loop: Header=BB0_75 Depth=2
	s_and_not1_saveexec_b32 s9, s9
; %bb.90:                               ;   in Loop: Header=BB0_75 Depth=2
	v_and_b32_e32 v20, 0xffff, v113
	v_or_b32_e32 v115, 0x10000, v113
	s_delay_alu instid0(VALU_DEP_2) | instskip(NEXT) | instid1(VALU_DEP_2)
	v_cmp_eq_u32_e32 vcc_lo, 0, v20
	v_cndmask_b32_e32 v20, v115, v113, vcc_lo
; %bb.91:                               ;   in Loop: Header=BB0_75 Depth=2
	s_or_b32 exec_lo, exec_lo, s9
	v_and_b32_e32 v112, 0xffff0000, v112
	s_delay_alu instid0(VALU_DEP_1) | instskip(NEXT) | instid1(VALU_DEP_1)
	v_mul_f32_e32 v112, v117, v112
	v_and_b32_e32 v113, 0x7f800000, v112
	s_delay_alu instid0(VALU_DEP_1) | instskip(SKIP_1) | instid1(SALU_CYCLE_1)
	v_cmp_ne_u32_e32 vcc_lo, 0x7f800000, v113
                                        ; implicit-def: $vgpr113
	s_and_saveexec_b32 s9, vcc_lo
	s_xor_b32 s9, exec_lo, s9
; %bb.92:                               ;   in Loop: Header=BB0_75 Depth=2
	v_bfe_u32 v113, v112, 16, 1
	s_delay_alu instid0(VALU_DEP_1)
	v_add3_u32 v113, v112, v113, 0x7fff
                                        ; implicit-def: $vgpr112
; %bb.93:                               ;   in Loop: Header=BB0_75 Depth=2
	s_and_not1_saveexec_b32 s9, s9
	s_cbranch_execz .LBB0_74
; %bb.94:                               ;   in Loop: Header=BB0_75 Depth=2
	v_and_b32_e32 v113, 0xffff, v112
	v_or_b32_e32 v115, 0x10000, v112
	s_delay_alu instid0(VALU_DEP_2) | instskip(NEXT) | instid1(VALU_DEP_2)
	v_cmp_eq_u32_e32 vcc_lo, 0, v113
	v_cndmask_b32_e32 v113, v115, v112, vcc_lo
	s_branch .LBB0_74
.LBB0_95:                               ;   in Loop: Header=BB0_32 Depth=1
	s_or_b32 exec_lo, exec_lo, s18
.LBB0_96:                               ;   in Loop: Header=BB0_32 Depth=1
	s_delay_alu instid0(SALU_CYCLE_1) | instskip(SKIP_2) | instid1(VALU_DEP_2)
	s_or_b32 exec_lo, exec_lo, s10
	v_and_b32_e32 v54, 0x7ffffff8, v21
	v_cmp_gt_i32_e64 s9, s13, v98
	v_cmp_eq_u64_e32 vcc_lo, 0x7ffffff8, v[54:55]
	s_delay_alu instid0(VALU_DEP_2) | instskip(NEXT) | instid1(SALU_CYCLE_1)
	s_and_b32 s9, vcc_lo, s9
	s_and_saveexec_b32 s10, s9
	s_cbranch_execz .LBB0_99
; %bb.97:                               ;   in Loop: Header=BB0_32 Depth=1
	v_dual_mov_b32 v54, v21 :: v_dual_and_b32 v17, 7, v21
	v_ashrrev_i32_e32 v99, 31, v98
	s_mov_b32 s18, 0
	s_delay_alu instid0(VALU_DEP_2) | instskip(SKIP_1) | instid1(VALU_DEP_2)
	v_mul_lo_u32 v17, v17, s13
	s_waitcnt vmcnt(0) lgkmcnt(0)
	v_lshlrev_b64 v[19:20], 4, v[98:99]
	s_delay_alu instid0(VALU_DEP_2) | instskip(NEXT) | instid1(VALU_DEP_1)
	v_ashrrev_i32_e32 v18, 31, v17
	v_lshlrev_b64 v[17:18], 4, v[17:18]
	s_delay_alu instid0(VALU_DEP_1) | instskip(NEXT) | instid1(VALU_DEP_2)
	v_add_co_u32 v19, vcc_lo, v19, v17
	v_add_co_ci_u32_e32 v20, vcc_lo, v20, v18, vcc_lo
	v_add_co_u32 v17, vcc_lo, 0, 0
	v_add_co_ci_u32_e32 v18, vcc_lo, 1, v54, vcc_lo
	s_delay_alu instid0(VALU_DEP_4) | instskip(NEXT) | instid1(VALU_DEP_4)
	v_add_co_u32 v99, vcc_lo, v38, v19
	v_add_co_ci_u32_e32 v100, vcc_lo, v39, v20, vcc_lo
.LBB0_98:                               ;   Parent Loop BB0_32 Depth=1
                                        ; =>  This Inner Loop Header: Depth=2
	s_delay_alu instid0(VALU_DEP_4) | instskip(NEXT) | instid1(VALU_DEP_4)
	v_dual_mov_b32 v19, v17 :: v_dual_add_nc_u32 v98, v98, v1
	v_mov_b32_e32 v20, v18
	s_delay_alu instid0(VALU_DEP_2) | instskip(SKIP_2) | instid1(VALU_DEP_1)
	v_cmp_le_i32_e32 vcc_lo, s13, v98
	global_store_b128 v[99:100], v[17:20], off
	v_add_co_u32 v99, s9, v99, v96
	v_add_co_ci_u32_e64 v100, s9, v100, v97, s9
	s_or_b32 s18, vcc_lo, s18
	s_delay_alu instid0(SALU_CYCLE_1)
	s_and_not1_b32 exec_lo, exec_lo, s18
	s_cbranch_execnz .LBB0_98
.LBB0_99:                               ;   in Loop: Header=BB0_32 Depth=1
	s_or_b32 exec_lo, exec_lo, s10
	v_add_co_u32 v98, vcc_lo, v5, v25
	v_add_co_ci_u32_e32 v99, vcc_lo, v6, v26, vcc_lo
	v_add_co_u32 v100, vcc_lo, v21, 1
	v_add_co_ci_u32_e32 v101, vcc_lo, 0, v22, vcc_lo
	s_and_not1_b32 vcc_lo, exec_lo, s17
	s_cbranch_vccnz .LBB0_223
; %bb.100:                              ;   in Loop: Header=BB0_32 Depth=1
	v_lshlrev_b64 v[17:18], 1, v[98:99]
	v_add_nc_u16 v150, v21, 1
	s_mov_b32 s18, 2
	s_delay_alu instid0(VALU_DEP_2) | instskip(NEXT) | instid1(VALU_DEP_3)
	v_add_co_u32 v148, vcc_lo, v119, v17
	v_add_co_ci_u32_e32 v149, vcc_lo, v128, v18, vcc_lo
.LBB0_101:                              ;   Parent Loop BB0_32 Depth=1
                                        ; =>  This Loop Header: Depth=2
                                        ;       Child Loop BB0_108 Depth 3
                                        ;       Child Loop BB0_128 Depth 3
	;; [unrolled: 1-line block ×3, first 2 shown]
                                        ;         Child Loop BB0_152 Depth 4
                                        ;       Child Loop BB0_204 Depth 3
                                        ;       Child Loop BB0_221 Depth 3
	s_sub_i32 s20, s14, s18
	s_delay_alu instid0(SALU_CYCLE_1) | instskip(NEXT) | instid1(SALU_CYCLE_1)
	s_ashr_i32 s21, s20, 31
	s_lshl_b64 s[20:21], s[20:21], 2
	s_delay_alu instid0(SALU_CYCLE_1)
	v_add_co_u32 v17, vcc_lo, v23, s20
	v_add_co_ci_u32_e32 v18, vcc_lo, s21, v24, vcc_lo
	s_waitcnt vmcnt(0) lgkmcnt(0)
	flat_load_b32 v19, v[17:18]
	s_and_saveexec_b32 s9, s1
	s_cbranch_execz .LBB0_119
; %bb.102:                              ;   in Loop: Header=BB0_101 Depth=2
	v_add_co_u32 v17, vcc_lo, v15, 1
	v_add_co_ci_u32_e32 v18, vcc_lo, 0, v16, vcc_lo
	v_add_co_u32 v20, vcc_lo, v52, 8
	v_add_co_ci_u32_e32 v21, vcc_lo, 0, v53, vcc_lo
	s_mov_b32 s10, exec_lo
	s_delay_alu instid0(VALU_DEP_1)
	v_cmpx_lt_u64_e64 v[20:21], v[17:18]
	s_cbranch_execz .LBB0_116
; %bb.103:                              ;   in Loop: Header=BB0_101 Depth=2
	s_sleep 1
	flat_load_b64 v[52:53], v[50:51] glc
	v_cmp_eq_u32_e32 vcc_lo, 0, v145
	s_and_saveexec_b32 s19, vcc_lo
	s_cbranch_execz .LBB0_115
; %bb.104:                              ;   in Loop: Header=BB0_101 Depth=2
	v_cndmask_b32_e64 v16, 0, 1, vcc_lo
	s_mov_b32 s20, 0
                                        ; implicit-def: $sgpr21
	s_branch .LBB0_108
.LBB0_105:                              ;   in Loop: Header=BB0_108 Depth=3
	s_or_b32 exec_lo, exec_lo, s24
	s_delay_alu instid0(SALU_CYCLE_1)
	s_or_not1_b32 s24, s25, exec_lo
.LBB0_106:                              ;   in Loop: Header=BB0_108 Depth=3
	s_or_b32 exec_lo, exec_lo, s23
	s_xor_b32 s23, s24, -1
	s_and_not1_b32 s21, s21, exec_lo
	s_and_b32 s23, s23, exec_lo
	s_delay_alu instid0(SALU_CYCLE_1)
	s_or_b32 s21, s21, s23
.LBB0_107:                              ;   in Loop: Header=BB0_108 Depth=3
	s_or_b32 exec_lo, exec_lo, s22
	s_delay_alu instid0(SALU_CYCLE_1) | instskip(NEXT) | instid1(SALU_CYCLE_1)
	s_and_b32 s22, exec_lo, s21
	s_or_b32 s20, s22, s20
	s_delay_alu instid0(SALU_CYCLE_1)
	s_and_not1_b32 exec_lo, exec_lo, s20
	s_cbranch_execz .LBB0_114
.LBB0_108:                              ;   Parent Loop BB0_32 Depth=1
                                        ;     Parent Loop BB0_101 Depth=2
                                        ; =>    This Inner Loop Header: Depth=3
	s_waitcnt vmcnt(0) lgkmcnt(0)
	v_add_co_u32 v20, vcc_lo, v52, 8
	v_add_co_ci_u32_e32 v21, vcc_lo, 0, v53, vcc_lo
	v_mov_b32_e32 v145, 0
	s_or_b32 s21, s21, exec_lo
	s_mov_b32 s22, exec_lo
	s_delay_alu instid0(VALU_DEP_2)
	v_cmpx_lt_u64_e64 v[20:21], v[17:18]
	s_cbranch_execz .LBB0_107
; %bb.109:                              ;   in Loop: Header=BB0_108 Depth=3
	s_sleep 1
	flat_load_b64 v[52:53], v[50:51] glc
	v_dual_mov_b32 v145, 0 :: v_dual_add_nc_u32 v16, 1, v16
	s_mov_b32 s24, -1
	s_mov_b32 s23, exec_lo
	s_delay_alu instid0(VALU_DEP_1)
	v_cmpx_eq_u32_e32 0x2710, v16
	s_cbranch_execz .LBB0_106
; %bb.110:                              ;   in Loop: Header=BB0_108 Depth=3
	s_cbranch_execnz .LBB0_333
; %bb.111:                              ;   in Loop: Header=BB0_108 Depth=3
	ds_load_b64 v[20:21], v0
	v_dual_mov_b32 v16, 0 :: v_dual_mov_b32 v145, 0
	s_mov_b32 s25, -1
	s_mov_b32 s24, exec_lo
	s_waitcnt vmcnt(0) lgkmcnt(0)
	s_waitcnt_vscnt null, 0x0
	flat_load_b32 v20, v[20:21] glc
	s_waitcnt vmcnt(0) lgkmcnt(0)
	buffer_gl1_inv
	buffer_gl0_inv
	v_cmpx_ne_u32_e32 0, v20
	s_cbranch_execz .LBB0_105
; %bb.112:                              ;   in Loop: Header=BB0_108 Depth=3
	ds_store_b32 v0, v20
	s_cbranch_execnz .LBB0_360
; %bb.113:                              ;   in Loop: Header=BB0_108 Depth=3
	v_mov_b32_e32 v145, 1
	s_xor_b32 s25, exec_lo, -1
	s_branch .LBB0_105
.LBB0_114:                              ;   in Loop: Header=BB0_101 Depth=2
	s_or_b32 exec_lo, exec_lo, s20
.LBB0_115:                              ;   in Loop: Header=BB0_101 Depth=2
	s_delay_alu instid0(SALU_CYCLE_1)
	s_or_b32 exec_lo, exec_lo, s19
.LBB0_116:                              ;   in Loop: Header=BB0_101 Depth=2
	s_delay_alu instid0(SALU_CYCLE_1)
	s_or_b32 exec_lo, exec_lo, s10
	s_and_saveexec_b32 s10, s2
	s_cbranch_execz .LBB0_118
; %bb.117:                              ;   in Loop: Header=BB0_101 Depth=2
	v_and_b32_e32 v54, 0x7ffffff8, v15
	v_and_b32_e32 v16, 7, v15
	s_delay_alu instid0(VALU_DEP_2) | instskip(NEXT) | instid1(VALU_DEP_2)
	v_cmp_eq_u64_e32 vcc_lo, 0x7ffffff8, v[54:55]
	v_mad_u64_u32 v[20:21], null, v16, 24, v[13:14]
	v_cndmask_b32_e64 v15, v147, s15, vcc_lo
	s_delay_alu instid0(VALU_DEP_1)
	v_ashrrev_i32_e32 v16, 31, v15
	flat_store_b64 v[20:21], v[15:16] offset:8 dlc
	s_waitcnt_vscnt null, 0x0
.LBB0_118:                              ;   in Loop: Header=BB0_101 Depth=2
	s_or_b32 exec_lo, exec_lo, s10
	v_dual_mov_b32 v15, v17 :: v_dual_mov_b32 v16, v18
.LBB0_119:                              ;   in Loop: Header=BB0_101 Depth=2
	s_or_b32 exec_lo, exec_lo, s9
	s_and_saveexec_b32 s9, s3
	s_cbranch_execz .LBB0_141
; %bb.120:                              ;   in Loop: Header=BB0_101 Depth=2
	s_and_saveexec_b32 s10, s4
	s_delay_alu instid0(SALU_CYCLE_1)
	s_xor_b32 s10, exec_lo, s10
	s_cbranch_execz .LBB0_138
; %bb.121:                              ;   in Loop: Header=BB0_101 Depth=2
	s_and_saveexec_b32 s19, s5
	s_cbranch_execz .LBB0_137
; %bb.122:                              ;   in Loop: Header=BB0_101 Depth=2
	s_mov_b32 s21, exec_lo
	s_mov_b32 s20, exec_lo
	v_mbcnt_lo_u32_b32 v17, s21, 0
	s_waitcnt vmcnt(0) lgkmcnt(0)
	s_waitcnt_vscnt null, 0x0
	buffer_gl1_inv
	buffer_gl0_inv
	v_cmpx_eq_u32_e32 0, v17
	s_cbranch_execz .LBB0_124
; %bb.123:                              ;   in Loop: Header=BB0_101 Depth=2
	s_bcnt1_i32_b32 s21, s21
	s_delay_alu instid0(SALU_CYCLE_1)
	v_mov_b32_e32 v54, s21
	ds_add_u64 v0, v[54:55]
	s_cbranch_execnz .LBB0_358
.LBB0_124:                              ;   in Loop: Header=BB0_101 Depth=2
	s_or_b32 exec_lo, exec_lo, s20
	s_cbranch_execnz .LBB0_352
; %bb.125:                              ;   in Loop: Header=BB0_101 Depth=2
	ds_load_b64 v[17:18], v0
	v_add_co_u32 v2, vcc_lo, v2, v118
	v_add_co_ci_u32_e32 v3, vcc_lo, v3, v71, vcc_lo
	s_mov_b32 s20, exec_lo
	s_waitcnt lgkmcnt(0)
	s_delay_alu instid0(VALU_DEP_1)
	v_cmpx_lt_u64_e64 v[17:18], v[2:3]
	s_cbranch_execz .LBB0_136
; %bb.126:                              ;   in Loop: Header=BB0_101 Depth=2
	s_mov_b32 s21, 0
	s_mov_b32 s24, 0
                                        ; implicit-def: $sgpr22
                                        ; implicit-def: $sgpr23
	s_branch .LBB0_128
.LBB0_127:                              ;   in Loop: Header=BB0_128 Depth=3
	s_or_b32 exec_lo, exec_lo, s27
	s_delay_alu instid0(SALU_CYCLE_1) | instskip(NEXT) | instid1(SALU_CYCLE_1)
	s_and_b32 s25, exec_lo, s26
	s_or_b32 s21, s25, s21
	s_and_not1_b32 s22, s22, exec_lo
	s_and_b32 s25, s23, exec_lo
	s_delay_alu instid0(SALU_CYCLE_1)
	s_or_b32 s22, s22, s25
	s_and_not1_b32 exec_lo, exec_lo, s21
	s_cbranch_execz .LBB0_134
.LBB0_128:                              ;   Parent Loop BB0_32 Depth=1
                                        ;     Parent Loop BB0_101 Depth=2
                                        ; =>    This Inner Loop Header: Depth=3
	s_add_i32 s24, s24, 1
                                        ; implicit-def: $sgpr26
	s_delay_alu instid0(SALU_CYCLE_1) | instskip(SKIP_1) | instid1(SALU_CYCLE_1)
	s_cmpk_lg_i32 s24, 0x2710
	s_cselect_b32 s25, -1, 0
	s_and_b32 vcc_lo, exec_lo, s25
	s_cbranch_vccz .LBB0_132
.LBB0_129:                              ;   in Loop: Header=BB0_128 Depth=3
	s_and_not1_b32 s23, s23, exec_lo
	s_and_b32 s27, s26, exec_lo
	s_mov_b32 s26, -1
	s_or_b32 s23, s23, s27
	s_and_saveexec_b32 s27, s25
	s_cbranch_execz .LBB0_127
; %bb.130:                              ;   in Loop: Header=BB0_128 Depth=3
	s_sleep 1
	s_cbranch_execnz .LBB0_376
; %bb.131:                              ;   in Loop: Header=BB0_128 Depth=3
	ds_load_b64 v[17:18], v0
	s_and_not1_b32 s23, s23, exec_lo
	s_waitcnt lgkmcnt(0)
	v_cmp_ge_u64_e32 vcc_lo, v[17:18], v[2:3]
	s_or_not1_b32 s26, vcc_lo, exec_lo
	s_branch .LBB0_127
.LBB0_132:                              ;   in Loop: Header=BB0_128 Depth=3
	s_cbranch_execnz .LBB0_380
; %bb.133:                              ;   in Loop: Header=BB0_128 Depth=3
	ds_load_b64 v[17:18], v0
	s_and_not1_b32 s25, s25, exec_lo
	s_mov_b32 s24, 0
	s_mov_b32 s26, -1
	s_waitcnt lgkmcnt(0)
	flat_load_b32 v17, v[17:18] glc
	s_waitcnt vmcnt(0) lgkmcnt(0)
	buffer_gl1_inv
	buffer_gl0_inv
	v_cmp_eq_u32_e32 vcc_lo, 0, v17
	s_and_b32 s27, vcc_lo, exec_lo
	s_delay_alu instid0(SALU_CYCLE_1)
	s_or_b32 s25, s25, s27
	s_branch .LBB0_129
.LBB0_134:                              ;   in Loop: Header=BB0_101 Depth=2
	s_or_b32 exec_lo, exec_lo, s21
	s_and_saveexec_b32 s21, s22
	s_delay_alu instid0(SALU_CYCLE_1)
	s_xor_b32 s21, exec_lo, s21
	s_cbranch_execz .LBB0_136
; %bb.135:                              ;   in Loop: Header=BB0_101 Depth=2
	ds_store_b32 v0, v144
	s_cbranch_execnz .LBB0_401
.LBB0_136:                              ;   in Loop: Header=BB0_101 Depth=2
	s_or_b32 exec_lo, exec_lo, s20
	;;#ASMSTART
	s_wakeup
	;;#ASMEND
.LBB0_137:                              ;   in Loop: Header=BB0_101 Depth=2
	s_or_b32 exec_lo, exec_lo, s19
.LBB0_138:                              ;   in Loop: Header=BB0_101 Depth=2
	s_and_not1_saveexec_b32 s10, s10
	s_cbranch_execz .LBB0_140
; %bb.139:                              ;   in Loop: Header=BB0_101 Depth=2
	s_waitcnt vmcnt(0) lgkmcnt(0)
	s_waitcnt_vscnt null, 0x0
	buffer_gl1_inv
	buffer_gl0_inv
	s_barrier
.LBB0_140:                              ;   in Loop: Header=BB0_101 Depth=2
	s_or_b32 exec_lo, exec_lo, s10
.LBB0_141:                              ;   in Loop: Header=BB0_101 Depth=2
	s_delay_alu instid0(SALU_CYCLE_1)
	s_or_b32 exec_lo, exec_lo, s9
	v_mov_b32_e32 v102, v4
	s_and_saveexec_b32 s19, s8
	s_cbranch_execz .LBB0_195
; %bb.142:                              ;   in Loop: Header=BB0_101 Depth=2
	s_waitcnt vmcnt(0) lgkmcnt(0)
	v_ashrrev_i32_e32 v20, 31, v19
	v_mul_lo_u32 v22, v67, v19
	v_mad_u64_u32 v[17:18], null, v66, v19, 0
	v_dual_mov_b32 v102, v100 :: v_dual_and_b32 v19, 7, v32
	s_delay_alu instid0(VALU_DEP_4) | instskip(SKIP_1) | instid1(VALU_DEP_3)
	v_mul_lo_u32 v20, v66, v20
	v_dual_mov_b32 v166, v146 :: v_dual_and_b32 v21, 7, v100
	v_mul_lo_u32 v19, v19, s13
	v_add_nc_u32_e32 v54, 1, v32
	s_mov_b32 s20, 0
	s_delay_alu instid0(VALU_DEP_3) | instskip(SKIP_1) | instid1(VALU_DEP_4)
	v_mul_lo_u32 v21, v21, s13
	v_add3_u32 v18, v18, v20, v22
	v_ashrrev_i32_e32 v20, 31, v19
	s_delay_alu instid0(VALU_DEP_2) | instskip(NEXT) | instid1(VALU_DEP_4)
	v_lshlrev_b64 v[17:18], 1, v[17:18]
	v_ashrrev_i32_e32 v22, 31, v21
	s_delay_alu instid0(VALU_DEP_3) | instskip(NEXT) | instid1(VALU_DEP_2)
	v_lshlrev_b64 v[19:20], 4, v[19:20]
	v_lshlrev_b64 v[21:22], 4, v[21:22]
	s_delay_alu instid0(VALU_DEP_4) | instskip(SKIP_1) | instid1(VALU_DEP_4)
	v_add_co_u32 v151, vcc_lo, v148, v17
	v_add_co_ci_u32_e32 v160, vcc_lo, v149, v18, vcc_lo
	v_add_co_u32 v161, vcc_lo, v29, v19
	v_add_co_ci_u32_e32 v162, vcc_lo, v30, v20, vcc_lo
	;; [unrolled: 2-line block ×4, first 2 shown]
	v_mov_b32_e32 v102, v4
	s_branch .LBB0_144
.LBB0_143:                              ;   in Loop: Header=BB0_144 Depth=3
	s_or_b32 exec_lo, exec_lo, s9
	v_add_co_u32 v151, vcc_lo, v151, v86
	v_sub_nc_u32_e32 v166, v166, v80
	v_add_co_ci_u32_e32 v160, vcc_lo, v160, v87, vcc_lo
	v_and_b32_e32 v19, 0xffff0000, v19
	v_lshrrev_b32_e32 v17, 16, v17
	v_lshrrev_b32_e32 v103, 16, v22
	v_and_b32_e32 v20, 0xffff0000, v20
	v_add_co_u32 v21, vcc_lo, v163, v112
	v_add_co_ci_u32_e32 v22, vcc_lo, v164, v113, vcc_lo
	v_cmp_gt_i32_e32 vcc_lo, 1, v166
	v_or3_b32 v17, v19, v17, v165
	v_or3_b32 v19, v20, v103, v165
	v_mov_b32_e32 v20, v18
	v_add_nc_u32_e32 v102, v102, v1
	s_or_b32 s20, vcc_lo, s20
	global_store_b128 v[21:22], v[17:20], off
	s_and_not1_b32 exec_lo, exec_lo, s20
	s_cbranch_execz .LBB0_194
.LBB0_144:                              ;   Parent Loop BB0_32 Depth=1
                                        ;     Parent Loop BB0_101 Depth=2
                                        ; =>    This Loop Header: Depth=3
                                        ;         Child Loop BB0_152 Depth 4
	v_dual_mov_b32 v20, v160 :: v_dual_and_b32 v19, -4, v151
	v_min_u32_e32 v17, 4, v166
	v_and_b32_e32 v21, 3, v151
	v_mov_b32_e32 v167, 0
	flat_load_b32 v176, v[19:20] glc
	v_lshlrev_b32_e32 v17, 1, v17
	s_delay_alu instid0(VALU_DEP_1) | instskip(NEXT) | instid1(VALU_DEP_1)
	v_add_co_u32 v21, s9, v21, v17
	v_add_co_ci_u32_e64 v22, null, 0, 0, s9
	v_mov_b32_e32 v17, 0
	s_mov_b32 s9, exec_lo
	s_delay_alu instid0(VALU_DEP_2)
	v_cmpx_lt_u64_e32 4, v[21:22]
	s_cbranch_execz .LBB0_146
; %bb.145:                              ;   in Loop: Header=BB0_144 Depth=3
	flat_load_b32 v167, v[19:20] offset:4 glc
.LBB0_146:                              ;   in Loop: Header=BB0_144 Depth=3
	s_or_b32 exec_lo, exec_lo, s9
	s_delay_alu instid0(SALU_CYCLE_1)
	s_mov_b32 s9, exec_lo
	v_cmpx_lt_u64_e32 8, v[21:22]
	s_cbranch_execz .LBB0_148
; %bb.147:                              ;   in Loop: Header=BB0_144 Depth=3
	flat_load_b32 v17, v[19:20] offset:8 glc
.LBB0_148:                              ;   in Loop: Header=BB0_144 Depth=3
	s_or_b32 exec_lo, exec_lo, s9
	v_ashrrev_i32_e32 v103, 31, v102
	s_delay_alu instid0(VALU_DEP_1) | instskip(NEXT) | instid1(VALU_DEP_1)
	v_lshlrev_b64 v[112:113], 4, v[102:103]
	v_add_co_u32 v114, vcc_lo, v161, v112
	s_delay_alu instid0(VALU_DEP_2)
	v_add_co_ci_u32_e32 v115, vcc_lo, v162, v113, vcc_lo
	v_cmp_eq_u32_e32 vcc_lo, 0, v145
	;;#ASMSTART
	global_load_b128 v[19:22], v[114:115], off glc slc dlc
s_waitcnt vmcnt(0)

	;;#ASMEND
	s_and_saveexec_b32 s21, vcc_lo
	s_cbranch_execz .LBB0_162
; %bb.149:                              ;   in Loop: Header=BB0_144 Depth=3
	v_cmp_ne_u32_e64 s9, v54, v20
	v_cmp_ne_u32_e64 s10, v54, v22
	v_mov_b32_e32 v145, 0
	s_delay_alu instid0(VALU_DEP_2) | instskip(NEXT) | instid1(SALU_CYCLE_1)
	s_or_b32 s9, s9, s10
	s_and_saveexec_b32 s10, s9
	s_cbranch_execz .LBB0_161
; %bb.150:                              ;   in Loop: Header=BB0_144 Depth=3
	v_cndmask_b32_e64 v103, 0, 1, vcc_lo
	s_mov_b32 s22, 0
                                        ; implicit-def: $sgpr23
                                        ; implicit-def: $sgpr24
	s_branch .LBB0_152
.LBB0_151:                              ;   in Loop: Header=BB0_152 Depth=4
	s_or_b32 exec_lo, exec_lo, s25
	s_delay_alu instid0(SALU_CYCLE_1) | instskip(NEXT) | instid1(SALU_CYCLE_1)
	s_and_b32 s9, exec_lo, s9
	s_or_b32 s22, s9, s22
	s_and_not1_b32 s9, s23, exec_lo
	s_and_b32 s23, s24, exec_lo
	s_delay_alu instid0(SALU_CYCLE_1)
	s_or_b32 s23, s9, s23
	s_and_not1_b32 exec_lo, exec_lo, s22
	s_cbranch_execz .LBB0_160
.LBB0_152:                              ;   Parent Loop BB0_32 Depth=1
                                        ;     Parent Loop BB0_101 Depth=2
                                        ;       Parent Loop BB0_144 Depth=3
                                        ; =>      This Inner Loop Header: Depth=4
	s_delay_alu instid0(VALU_DEP_1)
	v_add_nc_u32_e32 v103, 1, v103
	v_mov_b32_e32 v145, 0
	s_mov_b32 s9, -1
	s_mov_b32 s26, -1
	s_mov_b32 s25, exec_lo
	;;#ASMSTART
	global_load_b128 v[19:22], v[114:115], off glc slc dlc
s_waitcnt vmcnt(0)

	;;#ASMEND
	v_cmpx_eq_u32_e32 0x2710, v103
	s_cbranch_execz .LBB0_158
; %bb.153:                              ;   in Loop: Header=BB0_152 Depth=4
	s_cbranch_execnz .LBB0_327
; %bb.154:                              ;   in Loop: Header=BB0_152 Depth=4
	ds_load_b64 v[177:178], v0
	v_mov_b32_e32 v103, 0
	v_mov_b32_e32 v145, 0
	s_mov_b32 s27, -1
	s_mov_b32 s26, exec_lo
	s_waitcnt vmcnt(0) lgkmcnt(0)
	s_waitcnt_vscnt null, 0x0
	flat_load_b32 v177, v[177:178] glc
	s_waitcnt vmcnt(0) lgkmcnt(0)
	buffer_gl1_inv
	buffer_gl0_inv
	v_cmpx_ne_u32_e32 0, v177
	s_cbranch_execz .LBB0_157
; %bb.155:                              ;   in Loop: Header=BB0_152 Depth=4
	ds_store_b32 v0, v177
	s_cbranch_execnz .LBB0_335
; %bb.156:                              ;   in Loop: Header=BB0_152 Depth=4
	v_mov_b32_e32 v145, 1
	s_xor_b32 s27, exec_lo, -1
.LBB0_157:                              ;   in Loop: Header=BB0_152 Depth=4
	s_or_b32 exec_lo, exec_lo, s26
	s_delay_alu instid0(SALU_CYCLE_1)
	s_or_not1_b32 s26, s27, exec_lo
.LBB0_158:                              ;   in Loop: Header=BB0_152 Depth=4
	s_or_b32 exec_lo, exec_lo, s25
	s_delay_alu instid0(SALU_CYCLE_1)
	s_or_b32 s24, s24, exec_lo
	s_and_saveexec_b32 s25, s26
	s_cbranch_execz .LBB0_151
; %bb.159:                              ;   in Loop: Header=BB0_152 Depth=4
	v_cmp_eq_u32_e32 vcc_lo, v54, v20
	v_cmp_eq_u32_e64 s9, v54, v22
	s_and_not1_b32 s24, s24, exec_lo
	s_delay_alu instid0(VALU_DEP_1) | instskip(NEXT) | instid1(SALU_CYCLE_1)
	s_and_b32 s9, vcc_lo, s9
	s_or_not1_b32 s9, s9, exec_lo
	s_branch .LBB0_151
.LBB0_160:                              ;   in Loop: Header=BB0_144 Depth=3
	s_or_b32 exec_lo, exec_lo, s22
	s_xor_b32 s9, s23, -1
	s_delay_alu instid0(SALU_CYCLE_1) | instskip(NEXT) | instid1(SALU_CYCLE_1)
	s_and_saveexec_b32 s22, s9
	s_xor_b32 s9, exec_lo, s22
	s_delay_alu instid0(SALU_CYCLE_1) | instskip(NEXT) | instid1(SALU_CYCLE_1)
	s_and_not1_saveexec_b32 s9, s9
	s_or_b32 exec_lo, exec_lo, s9
.LBB0_161:                              ;   in Loop: Header=BB0_144 Depth=3
	s_delay_alu instid0(SALU_CYCLE_1)
	s_or_b32 exec_lo, exec_lo, s10
.LBB0_162:                              ;   in Loop: Header=BB0_144 Depth=3
	s_delay_alu instid0(SALU_CYCLE_1) | instskip(SKIP_2) | instid1(VALU_DEP_1)
	s_or_b32 exec_lo, exec_lo, s21
	v_lshlrev_b32_e32 v20, 3, v151
	s_waitcnt vmcnt(0) lgkmcnt(0)
	v_alignbit_b32 v22, v167, v176, v20
	s_delay_alu instid0(VALU_DEP_1) | instskip(NEXT) | instid1(VALU_DEP_1)
	v_lshlrev_b32_e32 v103, 16, v22
	v_mul_f32_e32 v103, v117, v103
	s_delay_alu instid0(VALU_DEP_1) | instskip(NEXT) | instid1(VALU_DEP_1)
	v_and_b32_e32 v114, 0x7f800000, v103
	v_cmp_ne_u32_e32 vcc_lo, 0x7f800000, v114
                                        ; implicit-def: $vgpr114
	s_and_saveexec_b32 s9, vcc_lo
	s_delay_alu instid0(SALU_CYCLE_1)
	s_xor_b32 s9, exec_lo, s9
; %bb.163:                              ;   in Loop: Header=BB0_144 Depth=3
	v_bfe_u32 v114, v103, 16, 1
	s_delay_alu instid0(VALU_DEP_1)
	v_add3_u32 v114, v103, v114, 0x7fff
                                        ; implicit-def: $vgpr103
; %bb.164:                              ;   in Loop: Header=BB0_144 Depth=3
	s_and_not1_saveexec_b32 s9, s9
; %bb.165:                              ;   in Loop: Header=BB0_144 Depth=3
	v_and_b32_e32 v114, 0xffff, v103
	v_or_b32_e32 v115, 0x10000, v103
	s_delay_alu instid0(VALU_DEP_2) | instskip(NEXT) | instid1(VALU_DEP_2)
	v_cmp_eq_u32_e32 vcc_lo, 0, v114
	v_cndmask_b32_e32 v114, v115, v103, vcc_lo
; %bb.166:                              ;   in Loop: Header=BB0_144 Depth=3
	s_or_b32 exec_lo, exec_lo, s9
	v_and_b32_e32 v22, 0xffff0000, v22
	s_delay_alu instid0(VALU_DEP_1) | instskip(NEXT) | instid1(VALU_DEP_1)
	v_mul_f32_e32 v103, v117, v22
	v_and_b32_e32 v22, 0x7f800000, v103
	s_delay_alu instid0(VALU_DEP_1) | instskip(SKIP_1) | instid1(SALU_CYCLE_1)
	v_cmp_ne_u32_e32 vcc_lo, 0x7f800000, v22
                                        ; implicit-def: $vgpr22
	s_and_saveexec_b32 s9, vcc_lo
	s_xor_b32 s9, exec_lo, s9
; %bb.167:                              ;   in Loop: Header=BB0_144 Depth=3
	v_bfe_u32 v22, v103, 16, 1
	s_delay_alu instid0(VALU_DEP_1)
	v_add3_u32 v22, v103, v22, 0x7fff
                                        ; implicit-def: $vgpr103
; %bb.168:                              ;   in Loop: Header=BB0_144 Depth=3
	s_and_not1_saveexec_b32 s9, s9
; %bb.169:                              ;   in Loop: Header=BB0_144 Depth=3
	v_and_b32_e32 v22, 0xffff, v103
	v_or_b32_e32 v115, 0x10000, v103
	s_delay_alu instid0(VALU_DEP_2) | instskip(NEXT) | instid1(VALU_DEP_2)
	v_cmp_eq_u32_e32 vcc_lo, 0, v22
	v_cndmask_b32_e32 v22, v115, v103, vcc_lo
; %bb.170:                              ;   in Loop: Header=BB0_144 Depth=3
	s_or_b32 exec_lo, exec_lo, s9
	v_alignbit_b32 v17, v17, v167, v20
	s_delay_alu instid0(VALU_DEP_1) | instskip(NEXT) | instid1(VALU_DEP_1)
	v_lshlrev_b32_e32 v20, 16, v17
	v_mul_f32_e32 v20, v117, v20
	s_delay_alu instid0(VALU_DEP_1) | instskip(NEXT) | instid1(VALU_DEP_1)
	v_and_b32_e32 v103, 0x7f800000, v20
	v_cmp_ne_u32_e32 vcc_lo, 0x7f800000, v103
                                        ; implicit-def: $vgpr103
	s_and_saveexec_b32 s9, vcc_lo
	s_delay_alu instid0(SALU_CYCLE_1)
	s_xor_b32 s9, exec_lo, s9
; %bb.171:                              ;   in Loop: Header=BB0_144 Depth=3
	v_bfe_u32 v103, v20, 16, 1
	s_delay_alu instid0(VALU_DEP_1)
	v_add3_u32 v103, v20, v103, 0x7fff
                                        ; implicit-def: $vgpr20
; %bb.172:                              ;   in Loop: Header=BB0_144 Depth=3
	s_and_not1_saveexec_b32 s9, s9
; %bb.173:                              ;   in Loop: Header=BB0_144 Depth=3
	v_and_b32_e32 v103, 0xffff, v20
	v_or_b32_e32 v115, 0x10000, v20
	s_delay_alu instid0(VALU_DEP_2) | instskip(NEXT) | instid1(VALU_DEP_2)
	v_cmp_eq_u32_e32 vcc_lo, 0, v103
	v_cndmask_b32_e32 v103, v115, v20, vcc_lo
; %bb.174:                              ;   in Loop: Header=BB0_144 Depth=3
	s_or_b32 exec_lo, exec_lo, s9
	v_and_b32_e32 v17, 0xffff0000, v17
	s_delay_alu instid0(VALU_DEP_1) | instskip(NEXT) | instid1(VALU_DEP_1)
	v_mul_f32_e32 v17, v117, v17
	v_and_b32_e32 v20, 0x7f800000, v17
	s_delay_alu instid0(VALU_DEP_1) | instskip(SKIP_1) | instid1(SALU_CYCLE_1)
	v_cmp_ne_u32_e32 vcc_lo, 0x7f800000, v20
                                        ; implicit-def: $vgpr20
	s_and_saveexec_b32 s9, vcc_lo
	s_xor_b32 s9, exec_lo, s9
; %bb.175:                              ;   in Loop: Header=BB0_144 Depth=3
	v_bfe_u32 v20, v17, 16, 1
	s_delay_alu instid0(VALU_DEP_1)
	v_add3_u32 v20, v17, v20, 0x7fff
                                        ; implicit-def: $vgpr17
; %bb.176:                              ;   in Loop: Header=BB0_144 Depth=3
	s_and_not1_saveexec_b32 s9, s9
; %bb.177:                              ;   in Loop: Header=BB0_144 Depth=3
	v_and_b32_e32 v20, 0xffff, v17
	v_or_b32_e32 v115, 0x10000, v17
	s_delay_alu instid0(VALU_DEP_2) | instskip(NEXT) | instid1(VALU_DEP_2)
	v_cmp_eq_u32_e32 vcc_lo, 0, v20
	v_cndmask_b32_e32 v20, v115, v17, vcc_lo
; %bb.178:                              ;   in Loop: Header=BB0_144 Depth=3
	s_or_b32 exec_lo, exec_lo, s9
	v_and_b32_e32 v17, 0xffff0000, v114
	v_lshlrev_b32_e32 v114, 16, v19
	s_delay_alu instid0(VALU_DEP_1) | instskip(NEXT) | instid1(VALU_DEP_1)
	v_add_f32_e32 v114, v114, v17
	v_and_b32_e32 v17, 0x7f800000, v114
	s_delay_alu instid0(VALU_DEP_1) | instskip(SKIP_1) | instid1(SALU_CYCLE_1)
	v_cmp_ne_u32_e32 vcc_lo, 0x7f800000, v17
                                        ; implicit-def: $vgpr17
	s_and_saveexec_b32 s9, vcc_lo
	s_xor_b32 s9, exec_lo, s9
; %bb.179:                              ;   in Loop: Header=BB0_144 Depth=3
	v_bfe_u32 v17, v114, 16, 1
	s_delay_alu instid0(VALU_DEP_1)
	v_add3_u32 v17, v114, v17, 0x7fff
                                        ; implicit-def: $vgpr114
; %bb.180:                              ;   in Loop: Header=BB0_144 Depth=3
	s_and_not1_saveexec_b32 s9, s9
; %bb.181:                              ;   in Loop: Header=BB0_144 Depth=3
	v_and_b32_e32 v17, 0xffff, v114
	v_or_b32_e32 v115, 0x10000, v114
	s_delay_alu instid0(VALU_DEP_2) | instskip(NEXT) | instid1(VALU_DEP_2)
	v_cmp_eq_u32_e32 vcc_lo, 0, v17
	v_cndmask_b32_e32 v17, v115, v114, vcc_lo
; %bb.182:                              ;   in Loop: Header=BB0_144 Depth=3
	s_or_b32 exec_lo, exec_lo, s9
	v_and_b32_e32 v22, 0xffff0000, v22
	v_and_b32_e32 v19, 0xffff0000, v19
	s_delay_alu instid0(VALU_DEP_1) | instskip(NEXT) | instid1(VALU_DEP_1)
	v_add_f32_e32 v22, v19, v22
	v_and_b32_e32 v19, 0x7f800000, v22
	s_delay_alu instid0(VALU_DEP_1) | instskip(SKIP_1) | instid1(SALU_CYCLE_1)
	v_cmp_ne_u32_e32 vcc_lo, 0x7f800000, v19
                                        ; implicit-def: $vgpr19
	s_and_saveexec_b32 s9, vcc_lo
	s_xor_b32 s9, exec_lo, s9
; %bb.183:                              ;   in Loop: Header=BB0_144 Depth=3
	v_bfe_u32 v19, v22, 16, 1
	s_delay_alu instid0(VALU_DEP_1)
	v_add3_u32 v19, v22, v19, 0x7fff
                                        ; implicit-def: $vgpr22
; %bb.184:                              ;   in Loop: Header=BB0_144 Depth=3
	s_and_not1_saveexec_b32 s9, s9
; %bb.185:                              ;   in Loop: Header=BB0_144 Depth=3
	v_and_b32_e32 v19, 0xffff, v22
	v_or_b32_e32 v114, 0x10000, v22
	s_delay_alu instid0(VALU_DEP_2) | instskip(NEXT) | instid1(VALU_DEP_2)
	v_cmp_eq_u32_e32 vcc_lo, 0, v19
	v_cndmask_b32_e32 v19, v114, v22, vcc_lo
; %bb.186:                              ;   in Loop: Header=BB0_144 Depth=3
	s_or_b32 exec_lo, exec_lo, s9
	v_and_b32_e32 v22, 0xffff0000, v103
	v_lshlrev_b32_e32 v103, 16, v21
	s_delay_alu instid0(VALU_DEP_1) | instskip(NEXT) | instid1(VALU_DEP_1)
	v_add_f32_e32 v103, v103, v22
	v_and_b32_e32 v22, 0x7f800000, v103
	s_delay_alu instid0(VALU_DEP_1) | instskip(SKIP_1) | instid1(SALU_CYCLE_1)
	v_cmp_ne_u32_e32 vcc_lo, 0x7f800000, v22
                                        ; implicit-def: $vgpr22
	s_and_saveexec_b32 s9, vcc_lo
	s_xor_b32 s9, exec_lo, s9
; %bb.187:                              ;   in Loop: Header=BB0_144 Depth=3
	v_bfe_u32 v22, v103, 16, 1
	s_delay_alu instid0(VALU_DEP_1)
	v_add3_u32 v22, v103, v22, 0x7fff
                                        ; implicit-def: $vgpr103
; %bb.188:                              ;   in Loop: Header=BB0_144 Depth=3
	s_and_not1_saveexec_b32 s9, s9
; %bb.189:                              ;   in Loop: Header=BB0_144 Depth=3
	v_and_b32_e32 v22, 0xffff, v103
	v_or_b32_e32 v114, 0x10000, v103
	s_delay_alu instid0(VALU_DEP_2) | instskip(NEXT) | instid1(VALU_DEP_2)
	v_cmp_eq_u32_e32 vcc_lo, 0, v22
	v_cndmask_b32_e32 v22, v114, v103, vcc_lo
; %bb.190:                              ;   in Loop: Header=BB0_144 Depth=3
	s_or_b32 exec_lo, exec_lo, s9
	v_and_b32_e32 v21, 0xffff0000, v21
	v_and_b32_e32 v20, 0xffff0000, v20
	s_delay_alu instid0(VALU_DEP_1) | instskip(NEXT) | instid1(VALU_DEP_1)
	v_add_f32_e32 v21, v21, v20
	v_and_b32_e32 v20, 0x7f800000, v21
	s_delay_alu instid0(VALU_DEP_1) | instskip(SKIP_1) | instid1(SALU_CYCLE_1)
	v_cmp_ne_u32_e32 vcc_lo, 0x7f800000, v20
                                        ; implicit-def: $vgpr20
	s_and_saveexec_b32 s9, vcc_lo
	s_xor_b32 s9, exec_lo, s9
; %bb.191:                              ;   in Loop: Header=BB0_144 Depth=3
	v_bfe_u32 v20, v21, 16, 1
	s_delay_alu instid0(VALU_DEP_1)
	v_add3_u32 v20, v21, v20, 0x7fff
                                        ; implicit-def: $vgpr21
; %bb.192:                              ;   in Loop: Header=BB0_144 Depth=3
	s_and_not1_saveexec_b32 s9, s9
	s_cbranch_execz .LBB0_143
; %bb.193:                              ;   in Loop: Header=BB0_144 Depth=3
	v_and_b32_e32 v20, 0xffff, v21
	v_or_b32_e32 v103, 0x10000, v21
	s_delay_alu instid0(VALU_DEP_2) | instskip(NEXT) | instid1(VALU_DEP_2)
	v_cmp_eq_u32_e32 vcc_lo, 0, v20
	v_cndmask_b32_e32 v20, v103, v21, vcc_lo
	s_branch .LBB0_143
.LBB0_194:                              ;   in Loop: Header=BB0_101 Depth=2
	s_or_b32 exec_lo, exec_lo, s20
.LBB0_195:                              ;   in Loop: Header=BB0_101 Depth=2
	s_delay_alu instid0(SALU_CYCLE_1)
	s_or_b32 exec_lo, exec_lo, s19
	s_and_saveexec_b32 s9, s3
	s_cbranch_execz .LBB0_217
; %bb.196:                              ;   in Loop: Header=BB0_101 Depth=2
	s_and_saveexec_b32 s10, s4
	s_delay_alu instid0(SALU_CYCLE_1)
	s_xor_b32 s10, exec_lo, s10
	s_cbranch_execz .LBB0_214
; %bb.197:                              ;   in Loop: Header=BB0_101 Depth=2
	s_and_saveexec_b32 s19, s5
	s_cbranch_execz .LBB0_213
; %bb.198:                              ;   in Loop: Header=BB0_101 Depth=2
	s_mov_b32 s21, exec_lo
	s_mov_b32 s20, exec_lo
	v_mbcnt_lo_u32_b32 v17, s21, 0
	s_waitcnt vmcnt(0) lgkmcnt(0)
	s_waitcnt_vscnt null, 0x0
	buffer_gl1_inv
	buffer_gl0_inv
	v_cmpx_eq_u32_e32 0, v17
	s_cbranch_execz .LBB0_200
; %bb.199:                              ;   in Loop: Header=BB0_101 Depth=2
	s_bcnt1_i32_b32 s21, s21
	s_delay_alu instid0(SALU_CYCLE_1)
	v_mov_b32_e32 v54, s21
	ds_add_u64 v0, v[54:55]
	s_cbranch_execnz .LBB0_370
.LBB0_200:                              ;   in Loop: Header=BB0_101 Depth=2
	s_or_b32 exec_lo, exec_lo, s20
	s_cbranch_execnz .LBB0_362
; %bb.201:                              ;   in Loop: Header=BB0_101 Depth=2
	ds_load_b64 v[17:18], v0
	v_add_co_u32 v2, vcc_lo, v2, v118
	v_add_co_ci_u32_e32 v3, vcc_lo, v3, v71, vcc_lo
	s_mov_b32 s20, exec_lo
	s_waitcnt lgkmcnt(0)
	s_delay_alu instid0(VALU_DEP_1)
	v_cmpx_lt_u64_e64 v[17:18], v[2:3]
	s_cbranch_execz .LBB0_212
; %bb.202:                              ;   in Loop: Header=BB0_101 Depth=2
	s_mov_b32 s21, 0
	s_mov_b32 s24, 0
                                        ; implicit-def: $sgpr22
                                        ; implicit-def: $sgpr23
	s_branch .LBB0_204
.LBB0_203:                              ;   in Loop: Header=BB0_204 Depth=3
	s_or_b32 exec_lo, exec_lo, s27
	s_delay_alu instid0(SALU_CYCLE_1) | instskip(NEXT) | instid1(SALU_CYCLE_1)
	s_and_b32 s25, exec_lo, s26
	s_or_b32 s21, s25, s21
	s_and_not1_b32 s22, s22, exec_lo
	s_and_b32 s25, s23, exec_lo
	s_delay_alu instid0(SALU_CYCLE_1)
	s_or_b32 s22, s22, s25
	s_and_not1_b32 exec_lo, exec_lo, s21
	s_cbranch_execz .LBB0_210
.LBB0_204:                              ;   Parent Loop BB0_32 Depth=1
                                        ;     Parent Loop BB0_101 Depth=2
                                        ; =>    This Inner Loop Header: Depth=3
	s_add_i32 s24, s24, 1
                                        ; implicit-def: $sgpr26
	s_delay_alu instid0(SALU_CYCLE_1) | instskip(SKIP_1) | instid1(SALU_CYCLE_1)
	s_cmpk_lg_i32 s24, 0x2710
	s_cselect_b32 s25, -1, 0
	s_and_b32 vcc_lo, exec_lo, s25
	s_cbranch_vccz .LBB0_208
.LBB0_205:                              ;   in Loop: Header=BB0_204 Depth=3
	s_and_not1_b32 s23, s23, exec_lo
	s_and_b32 s27, s26, exec_lo
	s_mov_b32 s26, -1
	s_or_b32 s23, s23, s27
	s_and_saveexec_b32 s27, s25
	s_cbranch_execz .LBB0_203
; %bb.206:                              ;   in Loop: Header=BB0_204 Depth=3
	s_sleep 1
	s_cbranch_execnz .LBB0_382
; %bb.207:                              ;   in Loop: Header=BB0_204 Depth=3
	ds_load_b64 v[17:18], v0
	s_and_not1_b32 s23, s23, exec_lo
	s_waitcnt lgkmcnt(0)
	v_cmp_ge_u64_e32 vcc_lo, v[17:18], v[2:3]
	s_or_not1_b32 s26, vcc_lo, exec_lo
	s_branch .LBB0_203
.LBB0_208:                              ;   in Loop: Header=BB0_204 Depth=3
	s_cbranch_execnz .LBB0_384
; %bb.209:                              ;   in Loop: Header=BB0_204 Depth=3
	ds_load_b64 v[17:18], v0
	s_and_not1_b32 s25, s25, exec_lo
	s_mov_b32 s24, 0
	s_mov_b32 s26, -1
	s_waitcnt lgkmcnt(0)
	flat_load_b32 v17, v[17:18] glc
	s_waitcnt vmcnt(0) lgkmcnt(0)
	buffer_gl1_inv
	buffer_gl0_inv
	v_cmp_eq_u32_e32 vcc_lo, 0, v17
	s_and_b32 s27, vcc_lo, exec_lo
	s_delay_alu instid0(SALU_CYCLE_1)
	s_or_b32 s25, s25, s27
	s_branch .LBB0_205
.LBB0_210:                              ;   in Loop: Header=BB0_101 Depth=2
	s_or_b32 exec_lo, exec_lo, s21
	s_and_saveexec_b32 s21, s22
	s_delay_alu instid0(SALU_CYCLE_1)
	s_xor_b32 s21, exec_lo, s21
	s_cbranch_execz .LBB0_212
; %bb.211:                              ;   in Loop: Header=BB0_101 Depth=2
	ds_store_b32 v0, v144
	s_cbranch_execnz .LBB0_403
.LBB0_212:                              ;   in Loop: Header=BB0_101 Depth=2
	s_or_b32 exec_lo, exec_lo, s20
	;;#ASMSTART
	s_wakeup
	;;#ASMEND
.LBB0_213:                              ;   in Loop: Header=BB0_101 Depth=2
	s_or_b32 exec_lo, exec_lo, s19
.LBB0_214:                              ;   in Loop: Header=BB0_101 Depth=2
	s_and_not1_saveexec_b32 s10, s10
	s_cbranch_execz .LBB0_216
; %bb.215:                              ;   in Loop: Header=BB0_101 Depth=2
	s_waitcnt vmcnt(0) lgkmcnt(0)
	s_waitcnt_vscnt null, 0x0
	buffer_gl1_inv
	buffer_gl0_inv
	s_barrier
.LBB0_216:                              ;   in Loop: Header=BB0_101 Depth=2
	s_or_b32 exec_lo, exec_lo, s10
.LBB0_217:                              ;   in Loop: Header=BB0_101 Depth=2
	s_delay_alu instid0(SALU_CYCLE_1)
	s_or_b32 exec_lo, exec_lo, s9
	s_and_saveexec_b32 s9, s6
	s_cbranch_execz .LBB0_219
; %bb.218:                              ;   in Loop: Header=BB0_101 Depth=2
	v_add_co_u32 v48, vcc_lo, v48, 1
	v_add_co_ci_u32_e32 v49, vcc_lo, 0, v49, vcc_lo
	s_waitcnt vmcnt(0) lgkmcnt(0)
	s_waitcnt_vscnt null, 0x0
	flat_store_b64 v[36:37], v[48:49]
.LBB0_219:                              ;   in Loop: Header=BB0_101 Depth=2
	s_or_b32 exec_lo, exec_lo, s9
	v_and_b32_e32 v54, 0x7ffffff8, v100
	v_cmp_gt_i32_e64 s9, s13, v102
	s_delay_alu instid0(VALU_DEP_2) | instskip(NEXT) | instid1(VALU_DEP_2)
	v_cmp_eq_u64_e32 vcc_lo, 0x7ffffff8, v[54:55]
	s_and_b32 s9, vcc_lo, s9
	s_delay_alu instid0(SALU_CYCLE_1)
	s_and_saveexec_b32 s10, s9
	s_cbranch_execz .LBB0_222
; %bb.220:                              ;   in Loop: Header=BB0_101 Depth=2
	v_and_b32_e32 v17, 7, v150
	v_ashrrev_i32_e32 v103, 31, v102
	v_mov_b32_e32 v21, v100
	s_mov_b32 s19, 0
	s_delay_alu instid0(VALU_DEP_3) | instskip(SKIP_2) | instid1(VALU_DEP_2)
	v_mul_lo_u32 v17, s13, v17
	s_waitcnt vmcnt(0) lgkmcnt(0)
	v_lshlrev_b64 v[19:20], 4, v[102:103]
	v_ashrrev_i32_e32 v18, 31, v17
	s_delay_alu instid0(VALU_DEP_1) | instskip(NEXT) | instid1(VALU_DEP_1)
	v_lshlrev_b64 v[17:18], 4, v[17:18]
	v_add_co_u32 v19, vcc_lo, v19, v17
	s_delay_alu instid0(VALU_DEP_2) | instskip(SKIP_2) | instid1(VALU_DEP_4)
	v_add_co_ci_u32_e32 v20, vcc_lo, v20, v18, vcc_lo
	v_add_co_u32 v17, vcc_lo, 0, 0
	v_add_co_ci_u32_e32 v18, vcc_lo, 1, v21, vcc_lo
	v_add_co_u32 v21, vcc_lo, v38, v19
	s_delay_alu instid0(VALU_DEP_4)
	v_add_co_ci_u32_e32 v22, vcc_lo, v39, v20, vcc_lo
.LBB0_221:                              ;   Parent Loop BB0_32 Depth=1
                                        ;     Parent Loop BB0_101 Depth=2
                                        ; =>    This Inner Loop Header: Depth=3
	s_delay_alu instid0(VALU_DEP_4) | instskip(NEXT) | instid1(VALU_DEP_4)
	v_dual_mov_b32 v19, v17 :: v_dual_add_nc_u32 v102, v102, v1
	v_mov_b32_e32 v20, v18
	s_delay_alu instid0(VALU_DEP_2) | instskip(SKIP_2) | instid1(VALU_DEP_1)
	v_cmp_le_i32_e32 vcc_lo, s13, v102
	global_store_b128 v[21:22], v[17:20], off
	v_add_co_u32 v21, s9, v21, v96
	v_add_co_ci_u32_e64 v22, s9, v22, v97, s9
	s_or_b32 s19, vcc_lo, s19
	s_delay_alu instid0(SALU_CYCLE_1)
	s_and_not1_b32 exec_lo, exec_lo, s19
	s_cbranch_execnz .LBB0_221
.LBB0_222:                              ;   in Loop: Header=BB0_101 Depth=2
	s_or_b32 exec_lo, exec_lo, s10
	v_add_co_u32 v32, vcc_lo, v32, 1
	v_add_co_ci_u32_e32 v33, vcc_lo, 0, v33, vcc_lo
	v_add_co_u32 v100, vcc_lo, v100, 1
	v_add_co_ci_u32_e32 v101, vcc_lo, 0, v101, vcc_lo
	v_add_nc_u16 v150, v150, 1
	s_add_i32 s18, s18, 1
	s_delay_alu instid0(SALU_CYCLE_1)
	s_cmp_eq_u32 s18, s14
	s_cbranch_scc0 .LBB0_101
.LBB0_223:                              ;   in Loop: Header=BB0_32 Depth=1
	s_delay_alu instid0(VALU_DEP_1)
	v_dual_mov_b32 v21, v100 :: v_dual_mov_b32 v22, v101
	s_and_saveexec_b32 s10, s8
	s_cbranch_execz .LBB0_287
; %bb.224:                              ;   in Loop: Header=BB0_32 Depth=1
	s_waitcnt vmcnt(0) lgkmcnt(0)
	flat_load_b32 v19, v[23:24]
	v_and_b32_e32 v54, 7, v32
	s_mov_b32 s18, 0
	s_delay_alu instid0(VALU_DEP_1)
	v_mul_lo_u32 v100, v54, s13
	v_add_nc_u32_e32 v54, 1, v32
	s_waitcnt vmcnt(0) lgkmcnt(0)
	v_ashrrev_i32_e32 v20, 31, v19
	v_mul_lo_u32 v101, v67, v19
	v_mad_u64_u32 v[17:18], null, v66, v19, 0
	s_delay_alu instid0(VALU_DEP_3) | instskip(SKIP_1) | instid1(VALU_DEP_2)
	v_mul_lo_u32 v102, v66, v20
	v_lshlrev_b64 v[19:20], 1, v[98:99]
	v_add3_u32 v18, v18, v102, v101
	s_delay_alu instid0(VALU_DEP_2) | instskip(SKIP_1) | instid1(VALU_DEP_4)
	v_add_co_u32 v102, vcc_lo, v11, v19
	v_ashrrev_i32_e32 v101, 31, v100
	v_add_co_ci_u32_e32 v103, vcc_lo, v12, v20, vcc_lo
	s_delay_alu instid0(VALU_DEP_4) | instskip(SKIP_3) | instid1(VALU_DEP_4)
	v_lshlrev_b64 v[17:18], 1, v[17:18]
	v_add_co_u32 v98, vcc_lo, v129, v19
	v_add_co_ci_u32_e32 v99, vcc_lo, v130, v20, vcc_lo
	v_lshlrev_b64 v[19:20], 4, v[100:101]
	v_add_co_u32 v17, vcc_lo, v102, v17
	v_add_co_ci_u32_e32 v18, vcc_lo, v103, v18, vcc_lo
	v_mov_b32_e32 v100, v4
	s_delay_alu instid0(VALU_DEP_4)
	v_add_co_u32 v103, vcc_lo, v29, v19
	v_add_co_ci_u32_e32 v112, vcc_lo, v30, v20, vcc_lo
	v_add_co_u32 v113, vcc_lo, v17, v82
	v_add_co_ci_u32_e32 v114, vcc_lo, v18, v83, vcc_lo
	s_branch .LBB0_226
.LBB0_225:                              ;   in Loop: Header=BB0_226 Depth=2
	v_sub_nc_u32_e32 v146, v146, v80
	v_add_co_u32 v113, vcc_lo, v113, v86
	v_add_co_ci_u32_e32 v114, vcc_lo, v114, v87, vcc_lo
	s_delay_alu instid0(VALU_DEP_3) | instskip(SKIP_1) | instid1(VALU_DEP_1)
	v_cmp_gt_i32_e32 vcc_lo, 1, v146
	v_add_co_u32 v98, s8, v98, v86
	v_add_co_ci_u32_e64 v99, s8, v99, v87, s8
	v_add_nc_u32_e32 v100, v100, v1
	s_or_b32 s18, vcc_lo, s18
	s_delay_alu instid0(SALU_CYCLE_1)
	s_and_not1_b32 exec_lo, exec_lo, s18
	s_cbranch_execz .LBB0_286
.LBB0_226:                              ;   Parent Loop BB0_32 Depth=1
                                        ; =>  This Loop Header: Depth=2
                                        ;       Child Loop BB0_234 Depth 3
	s_delay_alu instid0(VALU_DEP_1)
	v_dual_mov_b32 v18, v114 :: v_dual_and_b32 v17, -4, v113
	v_min_u32_e32 v19, 4, v146
	v_dual_mov_b32 v115, 0 :: v_dual_and_b32 v20, 3, v113
	v_mov_b32_e32 v147, 0
	flat_load_b32 v148, v[17:18] glc
	v_lshlrev_b32_e32 v19, 1, v19
	s_delay_alu instid0(VALU_DEP_1) | instskip(NEXT) | instid1(VALU_DEP_1)
	v_add_co_u32 v19, s8, v20, v19
	v_add_co_ci_u32_e64 v20, null, 0, 0, s8
	s_mov_b32 s8, exec_lo
	s_delay_alu instid0(VALU_DEP_1)
	v_cmpx_lt_u64_e32 4, v[19:20]
	s_cbranch_execz .LBB0_228
; %bb.227:                              ;   in Loop: Header=BB0_226 Depth=2
	flat_load_b32 v147, v[17:18] offset:4 glc
.LBB0_228:                              ;   in Loop: Header=BB0_226 Depth=2
	s_or_b32 exec_lo, exec_lo, s8
	s_delay_alu instid0(SALU_CYCLE_1)
	s_mov_b32 s8, exec_lo
	v_cmpx_lt_u64_e32 8, v[19:20]
	s_cbranch_execz .LBB0_230
; %bb.229:                              ;   in Loop: Header=BB0_226 Depth=2
	flat_load_b32 v115, v[17:18] offset:8 glc
.LBB0_230:                              ;   in Loop: Header=BB0_226 Depth=2
	s_or_b32 exec_lo, exec_lo, s8
	v_ashrrev_i32_e32 v101, 31, v100
	s_delay_alu instid0(VALU_DEP_1) | instskip(NEXT) | instid1(VALU_DEP_1)
	v_lshlrev_b64 v[17:18], 4, v[100:101]
	v_add_co_u32 v101, vcc_lo, v103, v17
	s_delay_alu instid0(VALU_DEP_2)
	v_add_co_ci_u32_e32 v102, vcc_lo, v112, v18, vcc_lo
	v_cmp_eq_u32_e32 vcc_lo, 0, v145
	;;#ASMSTART
	global_load_b128 v[17:20], v[101:102], off glc slc dlc
s_waitcnt vmcnt(0)

	;;#ASMEND
	s_and_saveexec_b32 s19, vcc_lo
	s_cbranch_execz .LBB0_244
; %bb.231:                              ;   in Loop: Header=BB0_226 Depth=2
	v_cmp_ne_u32_e64 s8, v54, v18
	v_cmp_ne_u32_e64 s9, v54, v20
	v_mov_b32_e32 v145, 0
	s_delay_alu instid0(VALU_DEP_2) | instskip(NEXT) | instid1(SALU_CYCLE_1)
	s_or_b32 s8, s8, s9
	s_and_saveexec_b32 s9, s8
	s_cbranch_execz .LBB0_243
; %bb.232:                              ;   in Loop: Header=BB0_226 Depth=2
	v_cndmask_b32_e64 v149, 0, 1, vcc_lo
	s_mov_b32 s20, 0
                                        ; implicit-def: $sgpr21
                                        ; implicit-def: $sgpr22
	s_branch .LBB0_234
.LBB0_233:                              ;   in Loop: Header=BB0_234 Depth=3
	s_or_b32 exec_lo, exec_lo, s23
	s_delay_alu instid0(SALU_CYCLE_1) | instskip(NEXT) | instid1(SALU_CYCLE_1)
	s_and_b32 s8, exec_lo, s8
	s_or_b32 s20, s8, s20
	s_and_not1_b32 s8, s21, exec_lo
	s_and_b32 s21, s22, exec_lo
	s_delay_alu instid0(SALU_CYCLE_1)
	s_or_b32 s21, s8, s21
	s_and_not1_b32 exec_lo, exec_lo, s20
	s_cbranch_execz .LBB0_242
.LBB0_234:                              ;   Parent Loop BB0_32 Depth=1
                                        ;     Parent Loop BB0_226 Depth=2
                                        ; =>    This Inner Loop Header: Depth=3
	s_delay_alu instid0(VALU_DEP_1)
	v_add_nc_u32_e32 v149, 1, v149
	v_mov_b32_e32 v145, 0
	s_mov_b32 s8, -1
	s_mov_b32 s24, -1
	s_mov_b32 s23, exec_lo
	;;#ASMSTART
	global_load_b128 v[17:20], v[101:102], off glc slc dlc
s_waitcnt vmcnt(0)

	;;#ASMEND
	v_cmpx_eq_u32_e32 0x2710, v149
	s_cbranch_execz .LBB0_240
; %bb.235:                              ;   in Loop: Header=BB0_234 Depth=3
	s_cbranch_execnz .LBB0_329
; %bb.236:                              ;   in Loop: Header=BB0_234 Depth=3
	ds_load_b64 v[149:150], v0
	v_mov_b32_e32 v145, 0
	s_mov_b32 s25, -1
	s_mov_b32 s24, exec_lo
	s_waitcnt vmcnt(0) lgkmcnt(0)
	s_waitcnt_vscnt null, 0x0
	flat_load_b32 v150, v[149:150] glc
	s_waitcnt vmcnt(0) lgkmcnt(0)
	buffer_gl1_inv
	buffer_gl0_inv
	v_mov_b32_e32 v149, 0
	v_cmpx_ne_u32_e32 0, v150
	s_cbranch_execz .LBB0_239
; %bb.237:                              ;   in Loop: Header=BB0_234 Depth=3
	ds_store_b32 v0, v150
	s_cbranch_execnz .LBB0_341
; %bb.238:                              ;   in Loop: Header=BB0_234 Depth=3
	v_mov_b32_e32 v145, 1
	s_xor_b32 s25, exec_lo, -1
.LBB0_239:                              ;   in Loop: Header=BB0_234 Depth=3
	s_or_b32 exec_lo, exec_lo, s24
	s_delay_alu instid0(SALU_CYCLE_1)
	s_or_not1_b32 s24, s25, exec_lo
.LBB0_240:                              ;   in Loop: Header=BB0_234 Depth=3
	s_or_b32 exec_lo, exec_lo, s23
	s_delay_alu instid0(SALU_CYCLE_1)
	s_or_b32 s22, s22, exec_lo
	s_and_saveexec_b32 s23, s24
	s_cbranch_execz .LBB0_233
; %bb.241:                              ;   in Loop: Header=BB0_234 Depth=3
	v_cmp_eq_u32_e32 vcc_lo, v54, v18
	v_cmp_eq_u32_e64 s8, v54, v20
	s_and_not1_b32 s22, s22, exec_lo
	s_delay_alu instid0(VALU_DEP_1) | instskip(NEXT) | instid1(SALU_CYCLE_1)
	s_and_b32 s8, vcc_lo, s8
	s_or_not1_b32 s8, s8, exec_lo
	s_branch .LBB0_233
.LBB0_242:                              ;   in Loop: Header=BB0_226 Depth=2
	s_or_b32 exec_lo, exec_lo, s20
	s_xor_b32 s8, s21, -1
	s_delay_alu instid0(SALU_CYCLE_1) | instskip(NEXT) | instid1(SALU_CYCLE_1)
	s_and_saveexec_b32 s20, s8
	s_xor_b32 s8, exec_lo, s20
	s_delay_alu instid0(SALU_CYCLE_1) | instskip(NEXT) | instid1(SALU_CYCLE_1)
	s_and_not1_saveexec_b32 s8, s8
	s_or_b32 exec_lo, exec_lo, s8
.LBB0_243:                              ;   in Loop: Header=BB0_226 Depth=2
	s_delay_alu instid0(SALU_CYCLE_1)
	s_or_b32 exec_lo, exec_lo, s9
.LBB0_244:                              ;   in Loop: Header=BB0_226 Depth=2
	s_delay_alu instid0(SALU_CYCLE_1) | instskip(SKIP_2) | instid1(VALU_DEP_1)
	s_or_b32 exec_lo, exec_lo, s19
	v_lshlrev_b32_e32 v20, 3, v113
	s_waitcnt vmcnt(0) lgkmcnt(0)
	v_alignbit_b32 v101, v147, v148, v20
	s_delay_alu instid0(VALU_DEP_1) | instskip(NEXT) | instid1(VALU_DEP_1)
	v_lshlrev_b32_e32 v18, 16, v101
	v_mul_f32_e32 v102, v117, v18
	s_delay_alu instid0(VALU_DEP_1) | instskip(NEXT) | instid1(VALU_DEP_1)
	v_and_b32_e32 v18, 0x7f800000, v102
	v_cmp_ne_u32_e32 vcc_lo, 0x7f800000, v18
                                        ; implicit-def: $vgpr18
	s_and_saveexec_b32 s8, vcc_lo
	s_delay_alu instid0(SALU_CYCLE_1)
	s_xor_b32 s8, exec_lo, s8
; %bb.245:                              ;   in Loop: Header=BB0_226 Depth=2
	v_bfe_u32 v18, v102, 16, 1
	s_delay_alu instid0(VALU_DEP_1)
	v_add3_u32 v18, v102, v18, 0x7fff
                                        ; implicit-def: $vgpr102
; %bb.246:                              ;   in Loop: Header=BB0_226 Depth=2
	s_and_not1_saveexec_b32 s8, s8
; %bb.247:                              ;   in Loop: Header=BB0_226 Depth=2
	v_and_b32_e32 v18, 0xffff, v102
	v_or_b32_e32 v148, 0x10000, v102
	s_delay_alu instid0(VALU_DEP_2) | instskip(NEXT) | instid1(VALU_DEP_2)
	v_cmp_eq_u32_e32 vcc_lo, 0, v18
	v_cndmask_b32_e32 v18, v148, v102, vcc_lo
; %bb.248:                              ;   in Loop: Header=BB0_226 Depth=2
	s_or_b32 exec_lo, exec_lo, s8
	v_and_b32_e32 v101, 0xffff0000, v101
	s_delay_alu instid0(VALU_DEP_1) | instskip(NEXT) | instid1(VALU_DEP_1)
	v_mul_f32_e32 v102, v117, v101
	v_and_b32_e32 v101, 0x7f800000, v102
	s_delay_alu instid0(VALU_DEP_1) | instskip(SKIP_1) | instid1(SALU_CYCLE_1)
	v_cmp_ne_u32_e32 vcc_lo, 0x7f800000, v101
                                        ; implicit-def: $vgpr101
	s_and_saveexec_b32 s8, vcc_lo
	s_xor_b32 s8, exec_lo, s8
; %bb.249:                              ;   in Loop: Header=BB0_226 Depth=2
	v_bfe_u32 v101, v102, 16, 1
	s_delay_alu instid0(VALU_DEP_1)
	v_add3_u32 v101, v102, v101, 0x7fff
                                        ; implicit-def: $vgpr102
; %bb.250:                              ;   in Loop: Header=BB0_226 Depth=2
	s_and_not1_saveexec_b32 s8, s8
; %bb.251:                              ;   in Loop: Header=BB0_226 Depth=2
	v_and_b32_e32 v101, 0xffff, v102
	v_or_b32_e32 v148, 0x10000, v102
	s_delay_alu instid0(VALU_DEP_2) | instskip(NEXT) | instid1(VALU_DEP_2)
	v_cmp_eq_u32_e32 vcc_lo, 0, v101
	v_cndmask_b32_e32 v101, v148, v102, vcc_lo
; %bb.252:                              ;   in Loop: Header=BB0_226 Depth=2
	s_or_b32 exec_lo, exec_lo, s8
	v_alignbit_b32 v20, v115, v147, v20
	s_delay_alu instid0(VALU_DEP_1) | instskip(NEXT) | instid1(VALU_DEP_1)
	v_lshlrev_b32_e32 v102, 16, v20
	v_mul_f32_e32 v115, v117, v102
	s_delay_alu instid0(VALU_DEP_1) | instskip(NEXT) | instid1(VALU_DEP_1)
	v_and_b32_e32 v102, 0x7f800000, v115
	v_cmp_ne_u32_e32 vcc_lo, 0x7f800000, v102
                                        ; implicit-def: $vgpr102
	s_and_saveexec_b32 s8, vcc_lo
	s_delay_alu instid0(SALU_CYCLE_1)
	s_xor_b32 s8, exec_lo, s8
; %bb.253:                              ;   in Loop: Header=BB0_226 Depth=2
	v_bfe_u32 v102, v115, 16, 1
	s_delay_alu instid0(VALU_DEP_1)
	v_add3_u32 v102, v115, v102, 0x7fff
                                        ; implicit-def: $vgpr115
; %bb.254:                              ;   in Loop: Header=BB0_226 Depth=2
	s_and_not1_saveexec_b32 s8, s8
; %bb.255:                              ;   in Loop: Header=BB0_226 Depth=2
	v_and_b32_e32 v102, 0xffff, v115
	v_or_b32_e32 v147, 0x10000, v115
	s_delay_alu instid0(VALU_DEP_2) | instskip(NEXT) | instid1(VALU_DEP_2)
	v_cmp_eq_u32_e32 vcc_lo, 0, v102
	v_cndmask_b32_e32 v102, v147, v115, vcc_lo
; %bb.256:                              ;   in Loop: Header=BB0_226 Depth=2
	s_or_b32 exec_lo, exec_lo, s8
	v_and_b32_e32 v20, 0xffff0000, v20
	s_delay_alu instid0(VALU_DEP_1) | instskip(NEXT) | instid1(VALU_DEP_1)
	v_mul_f32_e32 v115, v117, v20
	v_and_b32_e32 v20, 0x7f800000, v115
	s_delay_alu instid0(VALU_DEP_1) | instskip(SKIP_1) | instid1(SALU_CYCLE_1)
	v_cmp_ne_u32_e32 vcc_lo, 0x7f800000, v20
                                        ; implicit-def: $vgpr20
	s_and_saveexec_b32 s8, vcc_lo
	s_xor_b32 s8, exec_lo, s8
; %bb.257:                              ;   in Loop: Header=BB0_226 Depth=2
	v_bfe_u32 v20, v115, 16, 1
	s_delay_alu instid0(VALU_DEP_1)
	v_add3_u32 v20, v115, v20, 0x7fff
                                        ; implicit-def: $vgpr115
; %bb.258:                              ;   in Loop: Header=BB0_226 Depth=2
	s_and_not1_saveexec_b32 s8, s8
; %bb.259:                              ;   in Loop: Header=BB0_226 Depth=2
	v_and_b32_e32 v20, 0xffff, v115
	v_or_b32_e32 v147, 0x10000, v115
	s_delay_alu instid0(VALU_DEP_2) | instskip(NEXT) | instid1(VALU_DEP_2)
	v_cmp_eq_u32_e32 vcc_lo, 0, v20
	v_cndmask_b32_e32 v20, v147, v115, vcc_lo
; %bb.260:                              ;   in Loop: Header=BB0_226 Depth=2
	s_or_b32 exec_lo, exec_lo, s8
	v_and_b32_e32 v18, 0xffff0000, v18
	v_lshlrev_b32_e32 v115, 16, v17
	s_delay_alu instid0(VALU_DEP_1) | instskip(NEXT) | instid1(VALU_DEP_1)
	v_add_f32_e32 v115, v115, v18
	v_and_b32_e32 v18, 0x7f800000, v115
	s_delay_alu instid0(VALU_DEP_1) | instskip(SKIP_1) | instid1(SALU_CYCLE_1)
	v_cmp_ne_u32_e32 vcc_lo, 0x7f800000, v18
                                        ; implicit-def: $vgpr18
	s_and_saveexec_b32 s8, vcc_lo
	s_xor_b32 s8, exec_lo, s8
; %bb.261:                              ;   in Loop: Header=BB0_226 Depth=2
	v_bfe_u32 v18, v115, 16, 1
	s_delay_alu instid0(VALU_DEP_1)
	v_add3_u32 v18, v115, v18, 0x7fff
                                        ; implicit-def: $vgpr115
; %bb.262:                              ;   in Loop: Header=BB0_226 Depth=2
	s_and_not1_saveexec_b32 s8, s8
; %bb.263:                              ;   in Loop: Header=BB0_226 Depth=2
	v_and_b32_e32 v18, 0xffff, v115
	v_or_b32_e32 v147, 0x10000, v115
	s_delay_alu instid0(VALU_DEP_2) | instskip(NEXT) | instid1(VALU_DEP_2)
	v_cmp_eq_u32_e32 vcc_lo, 0, v18
	v_cndmask_b32_e32 v18, v147, v115, vcc_lo
; %bb.264:                              ;   in Loop: Header=BB0_226 Depth=2
	s_or_b32 exec_lo, exec_lo, s8
	v_and_b32_e32 v101, 0xffff0000, v101
	v_and_b32_e32 v17, 0xffff0000, v17
	s_delay_alu instid0(VALU_DEP_1) | instskip(NEXT) | instid1(VALU_DEP_1)
	v_add_f32_e32 v101, v17, v101
	v_and_b32_e32 v17, 0x7f800000, v101
	s_delay_alu instid0(VALU_DEP_1) | instskip(SKIP_1) | instid1(SALU_CYCLE_1)
	v_cmp_ne_u32_e32 vcc_lo, 0x7f800000, v17
                                        ; implicit-def: $vgpr17
	s_and_saveexec_b32 s8, vcc_lo
	s_xor_b32 s8, exec_lo, s8
; %bb.265:                              ;   in Loop: Header=BB0_226 Depth=2
	v_bfe_u32 v17, v101, 16, 1
	s_delay_alu instid0(VALU_DEP_1)
	v_add3_u32 v17, v101, v17, 0x7fff
                                        ; implicit-def: $vgpr101
; %bb.266:                              ;   in Loop: Header=BB0_226 Depth=2
	s_and_not1_saveexec_b32 s8, s8
; %bb.267:                              ;   in Loop: Header=BB0_226 Depth=2
	v_and_b32_e32 v17, 0xffff, v101
	v_or_b32_e32 v115, 0x10000, v101
	s_delay_alu instid0(VALU_DEP_2) | instskip(NEXT) | instid1(VALU_DEP_2)
	v_cmp_eq_u32_e32 vcc_lo, 0, v17
	v_cndmask_b32_e32 v17, v115, v101, vcc_lo
; %bb.268:                              ;   in Loop: Header=BB0_226 Depth=2
	s_or_b32 exec_lo, exec_lo, s8
	v_and_b32_e32 v101, 0xffff0000, v102
	v_lshlrev_b32_e32 v102, 16, v19
	s_delay_alu instid0(VALU_DEP_1) | instskip(NEXT) | instid1(VALU_DEP_1)
	v_add_f32_e32 v102, v102, v101
	v_and_b32_e32 v101, 0x7f800000, v102
	s_delay_alu instid0(VALU_DEP_1) | instskip(SKIP_1) | instid1(SALU_CYCLE_1)
	v_cmp_ne_u32_e32 vcc_lo, 0x7f800000, v101
                                        ; implicit-def: $vgpr101
	s_and_saveexec_b32 s8, vcc_lo
	s_xor_b32 s8, exec_lo, s8
; %bb.269:                              ;   in Loop: Header=BB0_226 Depth=2
	v_bfe_u32 v101, v102, 16, 1
	s_delay_alu instid0(VALU_DEP_1)
	v_add3_u32 v101, v102, v101, 0x7fff
                                        ; implicit-def: $vgpr102
; %bb.270:                              ;   in Loop: Header=BB0_226 Depth=2
	s_and_not1_saveexec_b32 s8, s8
; %bb.271:                              ;   in Loop: Header=BB0_226 Depth=2
	v_and_b32_e32 v101, 0xffff, v102
	v_or_b32_e32 v115, 0x10000, v102
	s_delay_alu instid0(VALU_DEP_2) | instskip(NEXT) | instid1(VALU_DEP_2)
	v_cmp_eq_u32_e32 vcc_lo, 0, v101
	v_cndmask_b32_e32 v101, v115, v102, vcc_lo
; %bb.272:                              ;   in Loop: Header=BB0_226 Depth=2
	s_or_b32 exec_lo, exec_lo, s8
	v_and_b32_e32 v19, 0xffff0000, v19
	v_and_b32_e32 v20, 0xffff0000, v20
	s_delay_alu instid0(VALU_DEP_1) | instskip(NEXT) | instid1(VALU_DEP_1)
	v_add_f32_e32 v20, v19, v20
	v_and_b32_e32 v19, 0x7f800000, v20
	s_delay_alu instid0(VALU_DEP_1) | instskip(SKIP_1) | instid1(SALU_CYCLE_1)
	v_cmp_ne_u32_e32 vcc_lo, 0x7f800000, v19
                                        ; implicit-def: $vgpr19
	s_and_saveexec_b32 s8, vcc_lo
	s_xor_b32 s8, exec_lo, s8
; %bb.273:                              ;   in Loop: Header=BB0_226 Depth=2
	v_bfe_u32 v19, v20, 16, 1
	s_delay_alu instid0(VALU_DEP_1)
	v_add3_u32 v19, v20, v19, 0x7fff
                                        ; implicit-def: $vgpr20
; %bb.274:                              ;   in Loop: Header=BB0_226 Depth=2
	s_and_not1_saveexec_b32 s8, s8
; %bb.275:                              ;   in Loop: Header=BB0_226 Depth=2
	v_and_b32_e32 v19, 0xffff, v20
	v_or_b32_e32 v102, 0x10000, v20
	s_delay_alu instid0(VALU_DEP_2) | instskip(NEXT) | instid1(VALU_DEP_2)
	v_cmp_eq_u32_e32 vcc_lo, 0, v19
	v_cndmask_b32_e32 v19, v102, v20, vcc_lo
; %bb.276:                              ;   in Loop: Header=BB0_226 Depth=2
	s_or_b32 exec_lo, exec_lo, s8
	v_cmp_lt_u32_e32 vcc_lo, 3, v146
	s_and_b32 s8, s7, vcc_lo
	s_delay_alu instid0(SALU_CYCLE_1) | instskip(SKIP_1) | instid1(VALU_DEP_1)
	v_cndmask_b32_e64 v20, 0, 1, s8
	;;#ASMSTART
	;;#ASMEND
	v_cmp_ne_u32_e64 s8, 0, v20
	s_delay_alu instid0(VALU_DEP_1)
	s_cmp_lg_u32 s8, exec_lo
	s_mov_b32 s8, -1
	s_cbranch_scc0 .LBB0_284
; %bb.277:                              ;   in Loop: Header=BB0_226 Depth=2
	s_mov_b32 s9, exec_lo
	flat_store_d16_hi_b16 v[98:99], v18
	v_cmpx_ne_u32_e32 1, v146
	s_cbranch_execz .LBB0_279
; %bb.278:                              ;   in Loop: Header=BB0_226 Depth=2
	flat_store_d16_hi_b16 v[98:99], v17 offset:2
.LBB0_279:                              ;   in Loop: Header=BB0_226 Depth=2
	s_or_b32 exec_lo, exec_lo, s9
	s_delay_alu instid0(SALU_CYCLE_1)
	s_mov_b32 s9, exec_lo
	v_cmpx_lt_u32_e32 2, v146
	s_cbranch_execz .LBB0_281
; %bb.280:                              ;   in Loop: Header=BB0_226 Depth=2
	flat_store_d16_hi_b16 v[98:99], v101 offset:4
.LBB0_281:                              ;   in Loop: Header=BB0_226 Depth=2
	s_or_b32 exec_lo, exec_lo, s9
	s_and_saveexec_b32 s8, vcc_lo
	s_cbranch_execz .LBB0_283
; %bb.282:                              ;   in Loop: Header=BB0_226 Depth=2
	flat_store_d16_hi_b16 v[98:99], v19 offset:6
.LBB0_283:                              ;   in Loop: Header=BB0_226 Depth=2
	s_or_b32 exec_lo, exec_lo, s8
	s_mov_b32 s8, 0
.LBB0_284:                              ;   in Loop: Header=BB0_226 Depth=2
	s_delay_alu instid0(SALU_CYCLE_1)
	s_and_b32 vcc_lo, exec_lo, s8
	s_cbranch_vccz .LBB0_225
; %bb.285:                              ;   in Loop: Header=BB0_226 Depth=2
	v_lshrrev_b32_e32 v18, 16, v18
	v_lshrrev_b32_e32 v20, 16, v101
	s_delay_alu instid0(VALU_DEP_2) | instskip(NEXT) | instid1(VALU_DEP_2)
	v_and_or_b32 v17, 0xffff0000, v17, v18
	v_and_or_b32 v18, 0xffff0000, v19, v20
	global_store_b64 v[98:99], v[17:18], off
	s_branch .LBB0_225
.LBB0_286:                              ;   in Loop: Header=BB0_32 Depth=1
	s_or_b32 exec_lo, exec_lo, s18
.LBB0_287:                              ;   in Loop: Header=BB0_32 Depth=1
	s_delay_alu instid0(SALU_CYCLE_1)
	s_or_b32 exec_lo, exec_lo, s10
	s_and_saveexec_b32 s8, s3
	s_cbranch_execz .LBB0_309
; %bb.288:                              ;   in Loop: Header=BB0_32 Depth=1
	s_and_saveexec_b32 s9, s4
	s_delay_alu instid0(SALU_CYCLE_1)
	s_xor_b32 s9, exec_lo, s9
	s_cbranch_execz .LBB0_306
; %bb.289:                              ;   in Loop: Header=BB0_32 Depth=1
	s_and_saveexec_b32 s10, s5
	s_cbranch_execz .LBB0_305
; %bb.290:                              ;   in Loop: Header=BB0_32 Depth=1
	s_mov_b32 s19, exec_lo
	s_mov_b32 s18, exec_lo
	v_mbcnt_lo_u32_b32 v17, s19, 0
	s_waitcnt vmcnt(0) lgkmcnt(0)
	s_waitcnt_vscnt null, 0x0
	buffer_gl1_inv
	buffer_gl0_inv
	v_cmpx_eq_u32_e32 0, v17
	s_cbranch_execz .LBB0_292
; %bb.291:                              ;   in Loop: Header=BB0_32 Depth=1
	s_bcnt1_i32_b32 s19, s19
	s_delay_alu instid0(SALU_CYCLE_1)
	v_mov_b32_e32 v54, s19
	ds_add_u64 v0, v[54:55]
	s_cbranch_execnz .LBB0_378
.LBB0_292:                              ;   in Loop: Header=BB0_32 Depth=1
	s_or_b32 exec_lo, exec_lo, s18
	s_cbranch_execnz .LBB0_366
; %bb.293:                              ;   in Loop: Header=BB0_32 Depth=1
	ds_load_b64 v[17:18], v0
	v_add_co_u32 v2, vcc_lo, v2, v118
	v_add_co_ci_u32_e32 v3, vcc_lo, v3, v71, vcc_lo
	s_mov_b32 s18, exec_lo
	s_waitcnt lgkmcnt(0)
	s_delay_alu instid0(VALU_DEP_1)
	v_cmpx_lt_u64_e64 v[17:18], v[2:3]
	s_cbranch_execz .LBB0_304
; %bb.294:                              ;   in Loop: Header=BB0_32 Depth=1
	s_mov_b32 s19, 0
	s_mov_b32 s22, 0
                                        ; implicit-def: $sgpr20
                                        ; implicit-def: $sgpr21
	s_branch .LBB0_296
.LBB0_295:                              ;   in Loop: Header=BB0_296 Depth=2
	s_or_b32 exec_lo, exec_lo, s25
	s_delay_alu instid0(SALU_CYCLE_1) | instskip(NEXT) | instid1(SALU_CYCLE_1)
	s_and_b32 s23, exec_lo, s24
	s_or_b32 s19, s23, s19
	s_and_not1_b32 s20, s20, exec_lo
	s_and_b32 s23, s21, exec_lo
	s_delay_alu instid0(SALU_CYCLE_1)
	s_or_b32 s20, s20, s23
	s_and_not1_b32 exec_lo, exec_lo, s19
	s_cbranch_execz .LBB0_302
.LBB0_296:                              ;   Parent Loop BB0_32 Depth=1
                                        ; =>  This Inner Loop Header: Depth=2
	s_add_i32 s22, s22, 1
                                        ; implicit-def: $sgpr24
	s_delay_alu instid0(SALU_CYCLE_1) | instskip(SKIP_1) | instid1(SALU_CYCLE_1)
	s_cmpk_lg_i32 s22, 0x2710
	s_cselect_b32 s23, -1, 0
	s_and_b32 vcc_lo, exec_lo, s23
	s_cbranch_vccz .LBB0_300
.LBB0_297:                              ;   in Loop: Header=BB0_296 Depth=2
	s_and_not1_b32 s21, s21, exec_lo
	s_and_b32 s25, s24, exec_lo
	s_mov_b32 s24, -1
	s_or_b32 s21, s21, s25
	s_and_saveexec_b32 s25, s23
	s_cbranch_execz .LBB0_295
; %bb.298:                              ;   in Loop: Header=BB0_296 Depth=2
	s_sleep 1
	s_cbranch_execnz .LBB0_386
; %bb.299:                              ;   in Loop: Header=BB0_296 Depth=2
	ds_load_b64 v[17:18], v0
	s_and_not1_b32 s21, s21, exec_lo
	s_waitcnt lgkmcnt(0)
	v_cmp_ge_u64_e32 vcc_lo, v[17:18], v[2:3]
	s_or_not1_b32 s24, vcc_lo, exec_lo
	s_branch .LBB0_295
.LBB0_300:                              ;   in Loop: Header=BB0_296 Depth=2
	s_cbranch_execnz .LBB0_388
; %bb.301:                              ;   in Loop: Header=BB0_296 Depth=2
	ds_load_b64 v[17:18], v0
	s_and_not1_b32 s23, s23, exec_lo
	s_mov_b32 s22, 0
	s_mov_b32 s24, -1
	s_waitcnt lgkmcnt(0)
	flat_load_b32 v17, v[17:18] glc
	s_waitcnt vmcnt(0) lgkmcnt(0)
	buffer_gl1_inv
	buffer_gl0_inv
	v_cmp_eq_u32_e32 vcc_lo, 0, v17
	s_and_b32 s25, vcc_lo, exec_lo
	s_delay_alu instid0(SALU_CYCLE_1)
	s_or_b32 s23, s23, s25
	s_branch .LBB0_297
.LBB0_302:                              ;   in Loop: Header=BB0_32 Depth=1
	s_or_b32 exec_lo, exec_lo, s19
	s_and_saveexec_b32 s19, s20
	s_delay_alu instid0(SALU_CYCLE_1)
	s_xor_b32 s19, exec_lo, s19
	s_cbranch_execz .LBB0_304
; %bb.303:                              ;   in Loop: Header=BB0_32 Depth=1
	ds_store_b32 v0, v144
	s_cbranch_execnz .LBB0_405
.LBB0_304:                              ;   in Loop: Header=BB0_32 Depth=1
	s_or_b32 exec_lo, exec_lo, s18
	;;#ASMSTART
	s_wakeup
	;;#ASMEND
.LBB0_305:                              ;   in Loop: Header=BB0_32 Depth=1
	s_or_b32 exec_lo, exec_lo, s10
.LBB0_306:                              ;   in Loop: Header=BB0_32 Depth=1
	s_and_not1_saveexec_b32 s9, s9
	s_cbranch_execz .LBB0_308
; %bb.307:                              ;   in Loop: Header=BB0_32 Depth=1
	s_waitcnt vmcnt(0) lgkmcnt(0)
	s_waitcnt_vscnt null, 0x0
	buffer_gl1_inv
	buffer_gl0_inv
	s_barrier
.LBB0_308:                              ;   in Loop: Header=BB0_32 Depth=1
	s_or_b32 exec_lo, exec_lo, s9
.LBB0_309:                              ;   in Loop: Header=BB0_32 Depth=1
	s_delay_alu instid0(SALU_CYCLE_1)
	s_or_b32 exec_lo, exec_lo, s8
	s_and_saveexec_b32 s8, s6
	s_cbranch_execz .LBB0_311
; %bb.310:                              ;   in Loop: Header=BB0_32 Depth=1
	v_add_co_u32 v48, vcc_lo, v48, 1
	v_add_co_ci_u32_e32 v49, vcc_lo, 0, v49, vcc_lo
	s_waitcnt vmcnt(0) lgkmcnt(0)
	s_waitcnt_vscnt null, 0x0
	flat_store_b64 v[36:37], v[48:49]
.LBB0_311:                              ;   in Loop: Header=BB0_32 Depth=1
	s_or_b32 exec_lo, exec_lo, s8
	v_add_co_u32 v5, vcc_lo, v5, v64
	v_add_co_ci_u32_e32 v6, vcc_lo, 0, v6, vcc_lo
	v_add_co_u32 v32, vcc_lo, v32, 1
	v_add_co_ci_u32_e32 v33, vcc_lo, 0, v33, vcc_lo
	s_delay_alu instid0(VALU_DEP_3) | instskip(SKIP_1) | instid1(VALU_DEP_1)
	v_cmp_ge_u64_e32 vcc_lo, v[5:6], v[7:8]
	v_add_co_u32 v9, s8, v9, v131
	v_add_co_ci_u32_e64 v10, s8, 0, v10, s8
	v_add_nc_u32_e32 v0, v0, v81
	s_or_b32 s16, vcc_lo, s16
	s_delay_alu instid0(SALU_CYCLE_1)
	s_and_not1_b32 exec_lo, exec_lo, s16
	s_cbranch_execnz .LBB0_32
; %bb.312:
	s_or_b32 exec_lo, exec_lo, s16
.LBB0_313:
	s_delay_alu instid0(SALU_CYCLE_1)
	s_or_b32 exec_lo, exec_lo, s12
	s_and_saveexec_b32 s1, s11
	s_cbranch_execz .LBB0_315
; %bb.314:
	s_waitcnt lgkmcnt(0)
	flat_store_b64 v[27:28], v[48:49] offset:104
.LBB0_315:
	s_or_b32 exec_lo, exec_lo, s1
	s_and_saveexec_b32 s1, s0
	s_cbranch_execz .LBB0_317
; %bb.316:
	s_waitcnt lgkmcnt(0)
	flat_store_b64 v[34:35], v[15:16] offset:104
.LBB0_317:
	s_or_b32 exec_lo, exec_lo, s1
	s_delay_alu instid0(SALU_CYCLE_1)
	s_mov_b32 s0, exec_lo
	v_cmpx_ne_u32_e32 32, v1
	s_cbranch_execz .LBB0_396
; %bb.318:
	s_mov_b32 s1, exec_lo
	v_cmpx_ne_u32_e64 v116, v1
	s_xor_b32 s1, exec_lo, s1
	s_cbranch_execz .LBB0_394
; %bb.319:
	v_and_b32_e32 v0, 31, v31
	s_mov_b32 s2, exec_lo
	s_delay_alu instid0(VALU_DEP_1)
	v_cmpx_eq_u32_e32 0, v0
	s_cbranch_execz .LBB0_393
; %bb.320:
	s_mov_b32 s4, exec_lo
	s_mov_b32 s3, exec_lo
	v_mbcnt_lo_u32_b32 v0, s4, 0
	s_waitcnt vmcnt(0) lgkmcnt(0)
	s_waitcnt_vscnt null, 0x0
	buffer_gl1_inv
	buffer_gl0_inv
	v_cmpx_eq_u32_e32 0, v0
	s_cbranch_execz .LBB0_322
; %bb.321:
	s_bcnt1_i32_b32 s4, s4
	s_delay_alu instid0(SALU_CYCLE_1)
	v_dual_mov_b32 v5, 0 :: v_dual_mov_b32 v4, s4
	ds_add_u64 v0, v[4:5]
	s_cbranch_execnz .LBB0_354
.LBB0_322:
	s_or_b32 exec_lo, exec_lo, s3
	s_cbranch_execnz .LBB0_339
; %bb.323:
	v_ashrrev_i32_e32 v0, 31, v1
	s_mov_b32 s3, exec_lo
	s_delay_alu instid0(VALU_DEP_1) | instskip(NEXT) | instid1(VALU_DEP_1)
	v_lshrrev_b32_e32 v0, 27, v0
	v_add_nc_u32_e32 v0, v1, v0
	ds_load_b64 v[4:5], v0
	v_ashrrev_i32_e32 v0, 5, v0
	s_delay_alu instid0(VALU_DEP_1) | instskip(SKIP_1) | instid1(VALU_DEP_2)
	v_ashrrev_i32_e32 v1, 31, v0
	v_add_co_u32 v0, vcc_lo, v2, v0
	v_add_co_ci_u32_e32 v1, vcc_lo, v3, v1, vcc_lo
	s_waitcnt lgkmcnt(0)
	s_delay_alu instid0(VALU_DEP_1)
	v_cmpx_lt_u64_e64 v[4:5], v[0:1]
	s_cbranch_execz .LBB0_392
; %bb.324:
	s_mov_b32 s4, 0
	s_mov_b32 s7, 0
                                        ; implicit-def: $sgpr5
                                        ; implicit-def: $sgpr6
	s_branch .LBB0_344
.LBB0_325:
	s_trap 2
	s_sendmsg_rtn_b32 s0, sendmsg(MSG_RTN_GET_DOORBELL)
	s_mov_b32 ttmp2, m0
	s_waitcnt lgkmcnt(0)
	s_and_b32 s0, s0, 0x3ff
	s_delay_alu instid0(SALU_CYCLE_1) | instskip(NEXT) | instid1(SALU_CYCLE_1)
	s_bitset1_b32 s0, 10
	s_mov_b32 m0, s0
	s_sendmsg sendmsg(MSG_INTERRUPT)
	s_mov_b32 m0, ttmp2
.LBB0_326:                              ; =>This Inner Loop Header: Depth=1
	s_sethalt 5
	s_branch .LBB0_326
.LBB0_327:
	s_trap 2
	s_sendmsg_rtn_b32 s0, sendmsg(MSG_RTN_GET_DOORBELL)
	s_mov_b32 ttmp2, m0
	s_waitcnt lgkmcnt(0)
	s_and_b32 s0, s0, 0x3ff
	s_delay_alu instid0(SALU_CYCLE_1) | instskip(NEXT) | instid1(SALU_CYCLE_1)
	s_bitset1_b32 s0, 10
	s_mov_b32 m0, s0
	s_sendmsg sendmsg(MSG_INTERRUPT)
	s_mov_b32 m0, ttmp2
.LBB0_328:                              ; =>This Inner Loop Header: Depth=1
	s_sethalt 5
	s_branch .LBB0_328
.LBB0_329:
	s_trap 2
	s_sendmsg_rtn_b32 s0, sendmsg(MSG_RTN_GET_DOORBELL)
	s_mov_b32 ttmp2, m0
	s_waitcnt lgkmcnt(0)
	s_and_b32 s0, s0, 0x3ff
	s_delay_alu instid0(SALU_CYCLE_1) | instskip(NEXT) | instid1(SALU_CYCLE_1)
	s_bitset1_b32 s0, 10
	s_mov_b32 m0, s0
	s_sendmsg sendmsg(MSG_INTERRUPT)
	s_mov_b32 m0, ttmp2
.LBB0_330:                              ; =>This Inner Loop Header: Depth=1
	s_sethalt 5
	s_branch .LBB0_330
.LBB0_331:
	s_trap 2
	s_sendmsg_rtn_b32 s0, sendmsg(MSG_RTN_GET_DOORBELL)
	s_mov_b32 ttmp2, m0
	s_waitcnt lgkmcnt(0)
	s_and_b32 s0, s0, 0x3ff
	s_delay_alu instid0(SALU_CYCLE_1) | instskip(NEXT) | instid1(SALU_CYCLE_1)
	s_bitset1_b32 s0, 10
	s_mov_b32 m0, s0
	s_sendmsg sendmsg(MSG_INTERRUPT)
	s_mov_b32 m0, ttmp2
.LBB0_332:                              ; =>This Inner Loop Header: Depth=1
	s_sethalt 5
	s_branch .LBB0_332
.LBB0_333:
	s_trap 2
	s_sendmsg_rtn_b32 s0, sendmsg(MSG_RTN_GET_DOORBELL)
	s_mov_b32 ttmp2, m0
	s_waitcnt lgkmcnt(0)
	s_and_b32 s0, s0, 0x3ff
	s_delay_alu instid0(SALU_CYCLE_1) | instskip(NEXT) | instid1(SALU_CYCLE_1)
	s_bitset1_b32 s0, 10
	s_mov_b32 m0, s0
	s_sendmsg sendmsg(MSG_INTERRUPT)
	s_mov_b32 m0, ttmp2
.LBB0_334:                              ; =>This Inner Loop Header: Depth=1
	s_sethalt 5
	s_branch .LBB0_334
.LBB0_335:
	s_trap 2
	s_sendmsg_rtn_b32 s0, sendmsg(MSG_RTN_GET_DOORBELL)
	s_mov_b32 ttmp2, m0
	s_waitcnt lgkmcnt(0)
	s_and_b32 s0, s0, 0x3ff
	s_delay_alu instid0(SALU_CYCLE_1) | instskip(NEXT) | instid1(SALU_CYCLE_1)
	s_bitset1_b32 s0, 10
	s_mov_b32 m0, s0
	s_sendmsg sendmsg(MSG_INTERRUPT)
	s_mov_b32 m0, ttmp2
.LBB0_336:                              ; =>This Inner Loop Header: Depth=1
	s_sethalt 5
	s_branch .LBB0_336
.LBB0_337:
	s_trap 2
	s_sendmsg_rtn_b32 s0, sendmsg(MSG_RTN_GET_DOORBELL)
	s_mov_b32 ttmp2, m0
	s_waitcnt lgkmcnt(0)
	s_and_b32 s0, s0, 0x3ff
	s_delay_alu instid0(SALU_CYCLE_1) | instskip(NEXT) | instid1(SALU_CYCLE_1)
	s_bitset1_b32 s0, 10
	s_mov_b32 m0, s0
	s_sendmsg sendmsg(MSG_INTERRUPT)
	s_mov_b32 m0, ttmp2
.LBB0_338:                              ; =>This Inner Loop Header: Depth=1
	s_sethalt 5
	s_branch .LBB0_338
.LBB0_339:
	s_trap 2
	s_sendmsg_rtn_b32 s0, sendmsg(MSG_RTN_GET_DOORBELL)
	s_mov_b32 ttmp2, m0
	s_waitcnt lgkmcnt(0)
	s_and_b32 s0, s0, 0x3ff
	s_delay_alu instid0(SALU_CYCLE_1) | instskip(NEXT) | instid1(SALU_CYCLE_1)
	s_bitset1_b32 s0, 10
	s_mov_b32 m0, s0
	s_sendmsg sendmsg(MSG_INTERRUPT)
	s_mov_b32 m0, ttmp2
.LBB0_340:                              ; =>This Inner Loop Header: Depth=1
	s_sethalt 5
	s_branch .LBB0_340
.LBB0_341:
	s_trap 2
	s_sendmsg_rtn_b32 s0, sendmsg(MSG_RTN_GET_DOORBELL)
	s_mov_b32 ttmp2, m0
	s_waitcnt lgkmcnt(0)
	s_and_b32 s0, s0, 0x3ff
	s_delay_alu instid0(SALU_CYCLE_1) | instskip(NEXT) | instid1(SALU_CYCLE_1)
	s_bitset1_b32 s0, 10
	s_mov_b32 m0, s0
	s_sendmsg sendmsg(MSG_INTERRUPT)
	s_mov_b32 m0, ttmp2
.LBB0_342:                              ; =>This Inner Loop Header: Depth=1
	s_sethalt 5
	s_branch .LBB0_342
.LBB0_343:                              ;   in Loop: Header=BB0_344 Depth=1
	s_or_b32 exec_lo, exec_lo, s10
	s_delay_alu instid0(SALU_CYCLE_1) | instskip(NEXT) | instid1(SALU_CYCLE_1)
	s_and_b32 s8, exec_lo, s9
	s_or_b32 s4, s8, s4
	s_and_not1_b32 s5, s5, exec_lo
	s_and_b32 s8, s6, exec_lo
	s_delay_alu instid0(SALU_CYCLE_1)
	s_or_b32 s5, s5, s8
	s_and_not1_b32 exec_lo, exec_lo, s4
	s_cbranch_execz .LBB0_390
.LBB0_344:                              ; =>This Inner Loop Header: Depth=1
	s_add_i32 s7, s7, 1
                                        ; implicit-def: $sgpr9
	s_delay_alu instid0(SALU_CYCLE_1) | instskip(SKIP_1) | instid1(SALU_CYCLE_1)
	s_cmpk_lg_i32 s7, 0x2710
	s_cselect_b32 s8, -1, 0
	s_and_b32 vcc_lo, exec_lo, s8
	s_cbranch_vccz .LBB0_348
.LBB0_345:                              ;   in Loop: Header=BB0_344 Depth=1
	s_and_not1_b32 s6, s6, exec_lo
	s_and_b32 s10, s9, exec_lo
	s_mov_b32 s9, -1
	s_or_b32 s6, s6, s10
	s_and_saveexec_b32 s10, s8
	s_cbranch_execz .LBB0_343
; %bb.346:                              ;   in Loop: Header=BB0_344 Depth=1
	s_sleep 1
	s_cbranch_execnz .LBB0_368
; %bb.347:                              ;   in Loop: Header=BB0_344 Depth=1
	ds_load_b64 v[2:3], v0
	s_and_not1_b32 s6, s6, exec_lo
	s_waitcnt lgkmcnt(0)
	v_cmp_ge_u64_e32 vcc_lo, v[2:3], v[0:1]
	s_or_not1_b32 s9, vcc_lo, exec_lo
	s_branch .LBB0_343
.LBB0_348:                              ;   in Loop: Header=BB0_344 Depth=1
	s_cbranch_execnz .LBB0_374
; %bb.349:                              ;   in Loop: Header=BB0_344 Depth=1
	ds_load_b64 v[2:3], v0
	s_and_not1_b32 s8, s8, exec_lo
	s_mov_b32 s7, 0
	s_mov_b32 s9, -1
	s_waitcnt lgkmcnt(0)
	flat_load_b32 v2, v[2:3] glc
	s_waitcnt vmcnt(0) lgkmcnt(0)
	buffer_gl1_inv
	buffer_gl0_inv
	v_cmp_eq_u32_e32 vcc_lo, 0, v2
	s_and_b32 s10, vcc_lo, exec_lo
	s_delay_alu instid0(SALU_CYCLE_1)
	s_or_b32 s8, s8, s10
	s_branch .LBB0_345
.LBB0_350:
	s_trap 2
	s_sendmsg_rtn_b32 s0, sendmsg(MSG_RTN_GET_DOORBELL)
	s_mov_b32 ttmp2, m0
	s_waitcnt lgkmcnt(0)
	s_and_b32 s0, s0, 0x3ff
	s_delay_alu instid0(SALU_CYCLE_1) | instskip(NEXT) | instid1(SALU_CYCLE_1)
	s_bitset1_b32 s0, 10
	s_mov_b32 m0, s0
	s_sendmsg sendmsg(MSG_INTERRUPT)
	s_mov_b32 m0, ttmp2
.LBB0_351:                              ; =>This Inner Loop Header: Depth=1
	s_sethalt 5
	s_branch .LBB0_351
.LBB0_352:
	s_trap 2
	s_sendmsg_rtn_b32 s0, sendmsg(MSG_RTN_GET_DOORBELL)
	s_mov_b32 ttmp2, m0
	s_waitcnt lgkmcnt(0)
	s_and_b32 s0, s0, 0x3ff
	s_delay_alu instid0(SALU_CYCLE_1) | instskip(NEXT) | instid1(SALU_CYCLE_1)
	s_bitset1_b32 s0, 10
	s_mov_b32 m0, s0
	s_sendmsg sendmsg(MSG_INTERRUPT)
	s_mov_b32 m0, ttmp2
.LBB0_353:                              ; =>This Inner Loop Header: Depth=1
	s_sethalt 5
	s_branch .LBB0_353
.LBB0_354:
	s_trap 2
	s_sendmsg_rtn_b32 s0, sendmsg(MSG_RTN_GET_DOORBELL)
	s_mov_b32 ttmp2, m0
	s_waitcnt lgkmcnt(0)
	s_and_b32 s0, s0, 0x3ff
	s_delay_alu instid0(SALU_CYCLE_1) | instskip(NEXT) | instid1(SALU_CYCLE_1)
	s_bitset1_b32 s0, 10
	s_mov_b32 m0, s0
	s_sendmsg sendmsg(MSG_INTERRUPT)
	s_mov_b32 m0, ttmp2
.LBB0_355:                              ; =>This Inner Loop Header: Depth=1
	s_sethalt 5
	s_branch .LBB0_355
.LBB0_356:
	s_trap 2
	s_sendmsg_rtn_b32 s0, sendmsg(MSG_RTN_GET_DOORBELL)
	s_mov_b32 ttmp2, m0
	s_waitcnt lgkmcnt(0)
	s_and_b32 s0, s0, 0x3ff
	s_delay_alu instid0(SALU_CYCLE_1) | instskip(NEXT) | instid1(SALU_CYCLE_1)
	s_bitset1_b32 s0, 10
	s_mov_b32 m0, s0
	s_sendmsg sendmsg(MSG_INTERRUPT)
	s_mov_b32 m0, ttmp2
.LBB0_357:                              ; =>This Inner Loop Header: Depth=1
	s_sethalt 5
	s_branch .LBB0_357
.LBB0_358:
	s_trap 2
	s_sendmsg_rtn_b32 s0, sendmsg(MSG_RTN_GET_DOORBELL)
	s_mov_b32 ttmp2, m0
	s_waitcnt lgkmcnt(0)
	s_and_b32 s0, s0, 0x3ff
	s_delay_alu instid0(SALU_CYCLE_1) | instskip(NEXT) | instid1(SALU_CYCLE_1)
	s_bitset1_b32 s0, 10
	s_mov_b32 m0, s0
	s_sendmsg sendmsg(MSG_INTERRUPT)
	s_mov_b32 m0, ttmp2
.LBB0_359:                              ; =>This Inner Loop Header: Depth=1
	s_sethalt 5
	s_branch .LBB0_359
.LBB0_360:
	s_trap 2
	s_sendmsg_rtn_b32 s0, sendmsg(MSG_RTN_GET_DOORBELL)
	s_mov_b32 ttmp2, m0
	s_waitcnt lgkmcnt(0)
	s_and_b32 s0, s0, 0x3ff
	s_delay_alu instid0(SALU_CYCLE_1) | instskip(NEXT) | instid1(SALU_CYCLE_1)
	s_bitset1_b32 s0, 10
	s_mov_b32 m0, s0
	s_sendmsg sendmsg(MSG_INTERRUPT)
	s_mov_b32 m0, ttmp2
.LBB0_361:                              ; =>This Inner Loop Header: Depth=1
	s_sethalt 5
	s_branch .LBB0_361
.LBB0_362:
	s_trap 2
	s_sendmsg_rtn_b32 s0, sendmsg(MSG_RTN_GET_DOORBELL)
	s_mov_b32 ttmp2, m0
	s_waitcnt lgkmcnt(0)
	s_and_b32 s0, s0, 0x3ff
	s_delay_alu instid0(SALU_CYCLE_1) | instskip(NEXT) | instid1(SALU_CYCLE_1)
	s_bitset1_b32 s0, 10
	s_mov_b32 m0, s0
	s_sendmsg sendmsg(MSG_INTERRUPT)
	s_mov_b32 m0, ttmp2
.LBB0_363:                              ; =>This Inner Loop Header: Depth=1
	s_sethalt 5
	s_branch .LBB0_363
.LBB0_364:
	s_trap 2
	s_sendmsg_rtn_b32 s0, sendmsg(MSG_RTN_GET_DOORBELL)
	s_mov_b32 ttmp2, m0
	s_waitcnt lgkmcnt(0)
	s_and_b32 s0, s0, 0x3ff
	s_delay_alu instid0(SALU_CYCLE_1) | instskip(NEXT) | instid1(SALU_CYCLE_1)
	s_bitset1_b32 s0, 10
	s_mov_b32 m0, s0
	s_sendmsg sendmsg(MSG_INTERRUPT)
	s_mov_b32 m0, ttmp2
.LBB0_365:                              ; =>This Inner Loop Header: Depth=1
	s_sethalt 5
	s_branch .LBB0_365
.LBB0_366:
	s_trap 2
	s_sendmsg_rtn_b32 s0, sendmsg(MSG_RTN_GET_DOORBELL)
	s_mov_b32 ttmp2, m0
	s_waitcnt lgkmcnt(0)
	s_and_b32 s0, s0, 0x3ff
	s_delay_alu instid0(SALU_CYCLE_1) | instskip(NEXT) | instid1(SALU_CYCLE_1)
	s_bitset1_b32 s0, 10
	s_mov_b32 m0, s0
	s_sendmsg sendmsg(MSG_INTERRUPT)
	s_mov_b32 m0, ttmp2
.LBB0_367:                              ; =>This Inner Loop Header: Depth=1
	s_sethalt 5
	s_branch .LBB0_367
.LBB0_368:
	s_trap 2
	s_sendmsg_rtn_b32 s0, sendmsg(MSG_RTN_GET_DOORBELL)
	s_mov_b32 ttmp2, m0
	s_waitcnt lgkmcnt(0)
	s_and_b32 s0, s0, 0x3ff
	s_delay_alu instid0(SALU_CYCLE_1) | instskip(NEXT) | instid1(SALU_CYCLE_1)
	s_bitset1_b32 s0, 10
	s_mov_b32 m0, s0
	s_sendmsg sendmsg(MSG_INTERRUPT)
	s_mov_b32 m0, ttmp2
.LBB0_369:                              ; =>This Inner Loop Header: Depth=1
	s_sethalt 5
	s_branch .LBB0_369
.LBB0_370:
	s_trap 2
	s_sendmsg_rtn_b32 s0, sendmsg(MSG_RTN_GET_DOORBELL)
	s_mov_b32 ttmp2, m0
	s_waitcnt lgkmcnt(0)
	s_and_b32 s0, s0, 0x3ff
	s_delay_alu instid0(SALU_CYCLE_1) | instskip(NEXT) | instid1(SALU_CYCLE_1)
	s_bitset1_b32 s0, 10
	s_mov_b32 m0, s0
	s_sendmsg sendmsg(MSG_INTERRUPT)
	s_mov_b32 m0, ttmp2
.LBB0_371:                              ; =>This Inner Loop Header: Depth=1
	s_sethalt 5
	s_branch .LBB0_371
.LBB0_372:
	s_trap 2
	s_sendmsg_rtn_b32 s0, sendmsg(MSG_RTN_GET_DOORBELL)
	s_mov_b32 ttmp2, m0
	s_waitcnt lgkmcnt(0)
	s_and_b32 s0, s0, 0x3ff
	s_delay_alu instid0(SALU_CYCLE_1) | instskip(NEXT) | instid1(SALU_CYCLE_1)
	s_bitset1_b32 s0, 10
	s_mov_b32 m0, s0
	s_sendmsg sendmsg(MSG_INTERRUPT)
	s_mov_b32 m0, ttmp2
.LBB0_373:                              ; =>This Inner Loop Header: Depth=1
	s_sethalt 5
	s_branch .LBB0_373
.LBB0_374:
	s_trap 2
	s_sendmsg_rtn_b32 s0, sendmsg(MSG_RTN_GET_DOORBELL)
	s_mov_b32 ttmp2, m0
	s_waitcnt lgkmcnt(0)
	s_and_b32 s0, s0, 0x3ff
	s_delay_alu instid0(SALU_CYCLE_1) | instskip(NEXT) | instid1(SALU_CYCLE_1)
	s_bitset1_b32 s0, 10
	s_mov_b32 m0, s0
	s_sendmsg sendmsg(MSG_INTERRUPT)
	s_mov_b32 m0, ttmp2
.LBB0_375:                              ; =>This Inner Loop Header: Depth=1
	s_sethalt 5
	s_branch .LBB0_375
.LBB0_376:
	s_trap 2
	s_sendmsg_rtn_b32 s0, sendmsg(MSG_RTN_GET_DOORBELL)
	s_mov_b32 ttmp2, m0
	s_waitcnt lgkmcnt(0)
	s_and_b32 s0, s0, 0x3ff
	s_delay_alu instid0(SALU_CYCLE_1) | instskip(NEXT) | instid1(SALU_CYCLE_1)
	s_bitset1_b32 s0, 10
	s_mov_b32 m0, s0
	s_sendmsg sendmsg(MSG_INTERRUPT)
	s_mov_b32 m0, ttmp2
.LBB0_377:                              ; =>This Inner Loop Header: Depth=1
	s_sethalt 5
	s_branch .LBB0_377
.LBB0_378:
	s_trap 2
	s_sendmsg_rtn_b32 s0, sendmsg(MSG_RTN_GET_DOORBELL)
	s_mov_b32 ttmp2, m0
	s_waitcnt lgkmcnt(0)
	s_and_b32 s0, s0, 0x3ff
	s_delay_alu instid0(SALU_CYCLE_1) | instskip(NEXT) | instid1(SALU_CYCLE_1)
	s_bitset1_b32 s0, 10
	s_mov_b32 m0, s0
	s_sendmsg sendmsg(MSG_INTERRUPT)
	s_mov_b32 m0, ttmp2
.LBB0_379:                              ; =>This Inner Loop Header: Depth=1
	s_sethalt 5
	s_branch .LBB0_379
.LBB0_380:
	s_trap 2
	s_sendmsg_rtn_b32 s0, sendmsg(MSG_RTN_GET_DOORBELL)
	s_mov_b32 ttmp2, m0
	s_waitcnt lgkmcnt(0)
	s_and_b32 s0, s0, 0x3ff
	s_delay_alu instid0(SALU_CYCLE_1) | instskip(NEXT) | instid1(SALU_CYCLE_1)
	s_bitset1_b32 s0, 10
	s_mov_b32 m0, s0
	s_sendmsg sendmsg(MSG_INTERRUPT)
	s_mov_b32 m0, ttmp2
.LBB0_381:                              ; =>This Inner Loop Header: Depth=1
	s_sethalt 5
	s_branch .LBB0_381
.LBB0_382:
	s_trap 2
	s_sendmsg_rtn_b32 s0, sendmsg(MSG_RTN_GET_DOORBELL)
	s_mov_b32 ttmp2, m0
	s_waitcnt lgkmcnt(0)
	s_and_b32 s0, s0, 0x3ff
	s_delay_alu instid0(SALU_CYCLE_1) | instskip(NEXT) | instid1(SALU_CYCLE_1)
	s_bitset1_b32 s0, 10
	s_mov_b32 m0, s0
	s_sendmsg sendmsg(MSG_INTERRUPT)
	s_mov_b32 m0, ttmp2
.LBB0_383:                              ; =>This Inner Loop Header: Depth=1
	s_sethalt 5
	s_branch .LBB0_383
.LBB0_384:
	s_trap 2
	s_sendmsg_rtn_b32 s0, sendmsg(MSG_RTN_GET_DOORBELL)
	s_mov_b32 ttmp2, m0
	s_waitcnt lgkmcnt(0)
	s_and_b32 s0, s0, 0x3ff
	s_delay_alu instid0(SALU_CYCLE_1) | instskip(NEXT) | instid1(SALU_CYCLE_1)
	s_bitset1_b32 s0, 10
	s_mov_b32 m0, s0
	s_sendmsg sendmsg(MSG_INTERRUPT)
	s_mov_b32 m0, ttmp2
.LBB0_385:                              ; =>This Inner Loop Header: Depth=1
	s_sethalt 5
	s_branch .LBB0_385
.LBB0_386:
	s_trap 2
	s_sendmsg_rtn_b32 s0, sendmsg(MSG_RTN_GET_DOORBELL)
	s_mov_b32 ttmp2, m0
	s_waitcnt lgkmcnt(0)
	s_and_b32 s0, s0, 0x3ff
	s_delay_alu instid0(SALU_CYCLE_1) | instskip(NEXT) | instid1(SALU_CYCLE_1)
	s_bitset1_b32 s0, 10
	s_mov_b32 m0, s0
	s_sendmsg sendmsg(MSG_INTERRUPT)
	s_mov_b32 m0, ttmp2
.LBB0_387:                              ; =>This Inner Loop Header: Depth=1
	s_sethalt 5
	s_branch .LBB0_387
.LBB0_388:
	s_trap 2
	s_sendmsg_rtn_b32 s0, sendmsg(MSG_RTN_GET_DOORBELL)
	s_mov_b32 ttmp2, m0
	s_waitcnt lgkmcnt(0)
	s_and_b32 s0, s0, 0x3ff
	s_delay_alu instid0(SALU_CYCLE_1) | instskip(NEXT) | instid1(SALU_CYCLE_1)
	s_bitset1_b32 s0, 10
	s_mov_b32 m0, s0
	s_sendmsg sendmsg(MSG_INTERRUPT)
	s_mov_b32 m0, ttmp2
.LBB0_389:                              ; =>This Inner Loop Header: Depth=1
	s_sethalt 5
	s_branch .LBB0_389
.LBB0_390:
	s_or_b32 exec_lo, exec_lo, s4
	s_and_saveexec_b32 s4, s5
	s_delay_alu instid0(SALU_CYCLE_1)
	s_xor_b32 s4, exec_lo, s4
	s_cbranch_execz .LBB0_392
; %bb.391:
	v_mov_b32_e32 v0, 1
	ds_store_b32 v0, v0
	s_cbranch_execnz .LBB0_399
.LBB0_392:
	s_or_b32 exec_lo, exec_lo, s3
	;;#ASMSTART
	s_wakeup
	;;#ASMEND
.LBB0_393:
	s_or_b32 exec_lo, exec_lo, s2
.LBB0_394:
	s_and_not1_saveexec_b32 s1, s1
	s_cbranch_execz .LBB0_396
; %bb.395:
	s_waitcnt vmcnt(0) lgkmcnt(0)
	s_waitcnt_vscnt null, 0x0
	buffer_gl1_inv
	buffer_gl0_inv
	s_barrier
.LBB0_396:
	s_or_b32 exec_lo, exec_lo, s0
	s_waitcnt vmcnt(0) lgkmcnt(0)
	s_setpc_b64 s[30:31]
.LBB0_397:
	s_trap 2
	s_sendmsg_rtn_b32 s0, sendmsg(MSG_RTN_GET_DOORBELL)
	s_mov_b32 ttmp2, m0
	s_waitcnt lgkmcnt(0)
	s_and_b32 s0, s0, 0x3ff
	s_delay_alu instid0(SALU_CYCLE_1) | instskip(NEXT) | instid1(SALU_CYCLE_1)
	s_bitset1_b32 s0, 10
	s_mov_b32 m0, s0
	s_sendmsg sendmsg(MSG_INTERRUPT)
	s_mov_b32 m0, ttmp2
.LBB0_398:                              ; =>This Inner Loop Header: Depth=1
	s_sethalt 5
	s_branch .LBB0_398
.LBB0_399:
	s_trap 2
	s_sendmsg_rtn_b32 s0, sendmsg(MSG_RTN_GET_DOORBELL)
	s_mov_b32 ttmp2, m0
	s_waitcnt lgkmcnt(0)
	s_and_b32 s0, s0, 0x3ff
	s_delay_alu instid0(SALU_CYCLE_1) | instskip(NEXT) | instid1(SALU_CYCLE_1)
	s_bitset1_b32 s0, 10
	s_mov_b32 m0, s0
	s_sendmsg sendmsg(MSG_INTERRUPT)
	s_mov_b32 m0, ttmp2
.LBB0_400:                              ; =>This Inner Loop Header: Depth=1
	s_sethalt 5
	s_branch .LBB0_400
.LBB0_401:
	s_trap 2
	s_sendmsg_rtn_b32 s0, sendmsg(MSG_RTN_GET_DOORBELL)
	s_mov_b32 ttmp2, m0
	s_waitcnt lgkmcnt(0)
	s_and_b32 s0, s0, 0x3ff
	s_delay_alu instid0(SALU_CYCLE_1) | instskip(NEXT) | instid1(SALU_CYCLE_1)
	s_bitset1_b32 s0, 10
	s_mov_b32 m0, s0
	s_sendmsg sendmsg(MSG_INTERRUPT)
	s_mov_b32 m0, ttmp2
.LBB0_402:                              ; =>This Inner Loop Header: Depth=1
	s_sethalt 5
	s_branch .LBB0_402
.LBB0_403:
	s_trap 2
	s_sendmsg_rtn_b32 s0, sendmsg(MSG_RTN_GET_DOORBELL)
	s_mov_b32 ttmp2, m0
	s_waitcnt lgkmcnt(0)
	s_and_b32 s0, s0, 0x3ff
	s_delay_alu instid0(SALU_CYCLE_1) | instskip(NEXT) | instid1(SALU_CYCLE_1)
	s_bitset1_b32 s0, 10
	s_mov_b32 m0, s0
	s_sendmsg sendmsg(MSG_INTERRUPT)
	s_mov_b32 m0, ttmp2
.LBB0_404:                              ; =>This Inner Loop Header: Depth=1
	s_sethalt 5
	s_branch .LBB0_404
.LBB0_405:
	s_trap 2
	s_sendmsg_rtn_b32 s0, sendmsg(MSG_RTN_GET_DOORBELL)
	s_mov_b32 ttmp2, m0
	s_waitcnt lgkmcnt(0)
	s_and_b32 s0, s0, 0x3ff
	s_delay_alu instid0(SALU_CYCLE_1) | instskip(NEXT) | instid1(SALU_CYCLE_1)
	s_bitset1_b32 s0, 10
	s_mov_b32 m0, s0
	s_sendmsg sendmsg(MSG_INTERRUPT)
	s_mov_b32 m0, ttmp2
.LBB0_406:                              ; =>This Inner Loop Header: Depth=1
	s_sethalt 5
	s_branch .LBB0_406
.Lfunc_end0:
	.size	_ZN12_GLOBAL__N_17runRingI12hip_bfloat1613FuncPreMulSumIS1_E7ProtoLLLi0ELi1ELi0EEEviiP15ncclDevWorkColl, .Lfunc_end0-_ZN12_GLOBAL__N_17runRingI12hip_bfloat1613FuncPreMulSumIS1_E7ProtoLLLi0ELi1ELi0EEEviiP15ncclDevWorkColl
                                        ; -- End function
	.section	.AMDGPU.csdata,"",@progbits
; Function info:
; codeLenInByte = 12040
; NumSgprs: 34
; NumVgprs: 179
; ScratchSize: 0
; MemoryBound: 0
	.text
	.p2align	2                               ; -- Begin function _Z54ncclDevFunc_ReduceScatter_RING_LL_PreMulSum_bf16_0_0_1v
	.type	_Z54ncclDevFunc_ReduceScatter_RING_LL_PreMulSum_bf16_0_0_1v,@function
_Z54ncclDevFunc_ReduceScatter_RING_LL_PreMulSum_bf16_0_0_1v: ; @_Z54ncclDevFunc_ReduceScatter_RING_LL_PreMulSum_bf16_0_0_1v
; %bb.0:
	s_waitcnt vmcnt(0) expcnt(0) lgkmcnt(0)
	s_mov_b32 s0, s33
	s_mov_b32 s33, s32
	s_or_saveexec_b32 s1, -1
	scratch_store_b32 off, v40, s33         ; 4-byte Folded Spill
	s_mov_b32 exec_lo, s1
	v_writelane_b32 v40, s0, 6
	s_add_i32 s32, s32, 16
	v_writelane_b32 v40, s34, 0
	v_writelane_b32 v40, s35, 1
	;; [unrolled: 1-line block ×6, first 2 shown]
	s_cbranch_execnz .LBB1_7
; %bb.1:
	ds_load_b32 v0, v0
	v_and_b32_e32 v179, 0x3ff, v31
	s_mov_b32 s0, exec_lo
	s_waitcnt lgkmcnt(0)
	s_delay_alu instid0(VALU_DEP_1)
	v_cmpx_lt_i32_e64 v179, v0
	s_cbranch_execz .LBB1_9
; %bb.2:
	s_load_b32 s1, s[8:9], 0x0
	v_mov_b32_e32 v1, 0
	s_waitcnt lgkmcnt(0)
	s_cmp_lt_u32 s12, s1
	s_cselect_b32 s1, 12, 18
	s_delay_alu instid0(SALU_CYCLE_1)
	s_add_u32 s2, s8, s1
	s_addc_u32 s3, s9, 0
	s_mov_b32 s1, 0
	global_load_u16 v1, v1, s[2:3]
	s_cbranch_execnz .LBB1_24
; %bb.3:
	ds_load_b32 v2, v0
	v_mov_b32_e32 v3, v179
	s_mov_b32 s2, 0
                                        ; implicit-def: $vgpr4
	s_waitcnt vmcnt(0) lgkmcnt(0)
	v_mul_lo_u32 v2, v2, v1
	s_branch .LBB1_5
	.p2align	6
.LBB1_4:                                ;   in Loop: Header=BB1_5 Depth=1
	s_or_b32 exec_lo, exec_lo, s3
	v_add_nc_u32_e32 v3, v3, v1
	v_add_nc_u32_e32 v4, v4, v2
	s_delay_alu instid0(VALU_DEP_2) | instskip(SKIP_1) | instid1(SALU_CYCLE_1)
	v_cmp_ge_i32_e32 vcc_lo, v3, v0
	s_or_b32 s1, vcc_lo, s1
	s_and_not1_b32 exec_lo, exec_lo, s1
	s_cbranch_execz .LBB1_9
.LBB1_5:                                ; =>This Inner Loop Header: Depth=1
	ds_load_b32 v5, v4
	s_mov_b32 s3, exec_lo
	s_waitcnt lgkmcnt(0)
	v_and_b32_e32 v5, 0x1000000, v5
	s_delay_alu instid0(VALU_DEP_1)
	v_cmpx_ne_u32_e32 0, v5
	s_cbranch_execz .LBB1_4
; %bb.6:                                ;   in Loop: Header=BB1_5 Depth=1
	ds_load_b64 v[5:6], v4 offset:104
	s_waitcnt lgkmcnt(0)
	flat_load_u16 v5, v[5:6]
	s_waitcnt vmcnt(0) lgkmcnt(0)
	v_dual_mov_b32 v6, s2 :: v_dual_and_b32 v5, 0xffff, v5
	ds_store_b64 v4, v[5:6] offset:104
	s_branch .LBB1_4
.LBB1_7:
	s_trap 2
	s_sendmsg_rtn_b32 s0, sendmsg(MSG_RTN_GET_DOORBELL)
	s_mov_b32 ttmp2, m0
	s_waitcnt lgkmcnt(0)
	s_and_b32 s0, s0, 0x3ff
	s_delay_alu instid0(SALU_CYCLE_1) | instskip(NEXT) | instid1(SALU_CYCLE_1)
	s_bitset1_b32 s0, 10
	s_mov_b32 m0, s0
	s_sendmsg sendmsg(MSG_INTERRUPT)
	s_mov_b32 m0, ttmp2
.LBB1_8:                                ; =>This Inner Loop Header: Depth=1
	s_sethalt 5
	s_branch .LBB1_8
.LBB1_9:
	s_or_b32 exec_lo, exec_lo, s0
	s_waitcnt lgkmcnt(0)
	s_waitcnt_vscnt null, 0x0
	s_barrier
	buffer_gl0_inv
	s_cbranch_execnz .LBB1_22
; %bb.10:
	ds_load_b32 v0, v0
	s_waitcnt lgkmcnt(0)
	v_cmp_gt_i32_e32 vcc_lo, 1, v0
	s_cbranch_vccnz .LBB1_21
; %bb.11:
	s_mov_b32 s36, 0
	s_mov_b64 s[34:35], src_shared_base
.LBB1_12:                               ; =>This Inner Loop Header: Depth=1
	s_cbranch_execnz .LBB1_26
; %bb.13:                               ;   in Loop: Header=BB1_12 Depth=1
	ds_load_b32 v0, v0
	s_cmp_eq_u32 s36, 0
	s_cbranch_scc1 .LBB1_17
; %bb.14:                               ;   in Loop: Header=BB1_12 Depth=1
	s_cbranch_execnz .LBB1_30
; %bb.15:                               ;   in Loop: Header=BB1_12 Depth=1
	s_waitcnt lgkmcnt(0)
	ds_load_b32 v1, v0
	s_waitcnt lgkmcnt(0)
	v_xor_b32_e32 v1, v1, v0
	s_delay_alu instid0(VALU_DEP_1) | instskip(NEXT) | instid1(VALU_DEP_1)
	v_and_b32_e32 v1, 0xff0000, v1
	v_cmp_eq_u32_e32 vcc_lo, 0, v1
	s_cbranch_vccnz .LBB1_17
; %bb.16:                               ;   in Loop: Header=BB1_12 Depth=1
	s_waitcnt_vscnt null, 0x0
	s_barrier
	buffer_gl0_inv
	ds_load_b32 v0, v0
.LBB1_17:                               ;   in Loop: Header=BB1_12 Depth=1
	s_waitcnt lgkmcnt(0)
	v_lshrrev_b32_e32 v0, 11, v0
	s_mov_b32 s37, exec_lo
	s_delay_alu instid0(VALU_DEP_1) | instskip(NEXT) | instid1(VALU_DEP_1)
	v_and_b32_e32 v1, 0x1fe0, v0
	v_cmpx_lt_u32_e64 v179, v1
	s_cbranch_execz .LBB1_19
; %bb.18:                               ;   in Loop: Header=BB1_12 Depth=1
	v_dual_mov_b32 v0, v179 :: v_dual_mov_b32 v3, s35
	s_getpc_b64 s[0:1]
	s_add_u32 s0, s0, _ZN12_GLOBAL__N_17runRingI12hip_bfloat1613FuncPreMulSumIS1_E7ProtoLLLi0ELi1ELi0EEEviiP15ncclDevWorkColl@rel32@lo+4
	s_addc_u32 s1, s1, _ZN12_GLOBAL__N_17runRingI12hip_bfloat1613FuncPreMulSumIS1_E7ProtoLLLi0ELi1ELi0EEEviiP15ncclDevWorkColl@rel32@hi+12
	s_mov_b64 s[28:29], s[8:9]
	s_mov_b32 s34, s12
	s_swappc_b64 s[30:31], s[0:1]
	s_mov_b32 s12, s34
	s_mov_b64 s[8:9], s[28:29]
.LBB1_19:                               ;   in Loop: Header=BB1_12 Depth=1
	s_or_b32 exec_lo, exec_lo, s37
	s_cbranch_execnz .LBB1_28
; %bb.20:                               ;   in Loop: Header=BB1_12 Depth=1
	ds_load_b32 v0, v0
	s_add_i32 s36, s36, 1
	s_waitcnt lgkmcnt(0)
	v_cmp_lt_i32_e32 vcc_lo, s36, v0
	s_cbranch_vccnz .LBB1_12
.LBB1_21:
	v_readlane_b32 s30, v40, 4
	v_readlane_b32 s31, v40, 5
	;; [unrolled: 1-line block ×7, first 2 shown]
	s_or_saveexec_b32 s1, -1
	scratch_load_b32 v40, off, s33          ; 4-byte Folded Reload
	s_mov_b32 exec_lo, s1
	s_add_i32 s32, s32, -16
	s_mov_b32 s33, s0
	s_waitcnt vmcnt(0)
	s_setpc_b64 s[30:31]
.LBB1_22:
	s_trap 2
	s_sendmsg_rtn_b32 s0, sendmsg(MSG_RTN_GET_DOORBELL)
	s_mov_b32 ttmp2, m0
	s_waitcnt lgkmcnt(0)
	s_and_b32 s0, s0, 0x3ff
	s_delay_alu instid0(SALU_CYCLE_1) | instskip(NEXT) | instid1(SALU_CYCLE_1)
	s_bitset1_b32 s0, 10
	s_mov_b32 m0, s0
	s_sendmsg sendmsg(MSG_INTERRUPT)
	s_mov_b32 m0, ttmp2
.LBB1_23:                               ; =>This Inner Loop Header: Depth=1
	s_sethalt 5
	s_branch .LBB1_23
.LBB1_24:
	s_trap 2
	s_sendmsg_rtn_b32 s0, sendmsg(MSG_RTN_GET_DOORBELL)
	s_mov_b32 ttmp2, m0
	s_waitcnt lgkmcnt(0)
	s_and_b32 s0, s0, 0x3ff
	s_delay_alu instid0(SALU_CYCLE_1) | instskip(NEXT) | instid1(SALU_CYCLE_1)
	s_bitset1_b32 s0, 10
	s_mov_b32 m0, s0
	s_sendmsg sendmsg(MSG_INTERRUPT)
	s_mov_b32 m0, ttmp2
.LBB1_25:                               ; =>This Inner Loop Header: Depth=1
	s_sethalt 5
	s_branch .LBB1_25
.LBB1_26:
	s_trap 2
	s_sendmsg_rtn_b32 s0, sendmsg(MSG_RTN_GET_DOORBELL)
	s_mov_b32 ttmp2, m0
	s_waitcnt lgkmcnt(0)
	s_and_b32 s0, s0, 0x3ff
	s_delay_alu instid0(SALU_CYCLE_1) | instskip(NEXT) | instid1(SALU_CYCLE_1)
	s_bitset1_b32 s0, 10
	s_mov_b32 m0, s0
	s_sendmsg sendmsg(MSG_INTERRUPT)
	s_mov_b32 m0, ttmp2
.LBB1_27:                               ; =>This Inner Loop Header: Depth=1
	s_sethalt 5
	s_branch .LBB1_27
.LBB1_28:
	s_trap 2
	s_sendmsg_rtn_b32 s0, sendmsg(MSG_RTN_GET_DOORBELL)
	s_mov_b32 ttmp2, m0
	s_waitcnt lgkmcnt(0)
	s_and_b32 s0, s0, 0x3ff
	s_delay_alu instid0(SALU_CYCLE_1) | instskip(NEXT) | instid1(SALU_CYCLE_1)
	s_bitset1_b32 s0, 10
	s_mov_b32 m0, s0
	s_sendmsg sendmsg(MSG_INTERRUPT)
	s_mov_b32 m0, ttmp2
.LBB1_29:                               ; =>This Inner Loop Header: Depth=1
	s_sethalt 5
	s_branch .LBB1_29
.LBB1_30:
	s_trap 2
	s_sendmsg_rtn_b32 s0, sendmsg(MSG_RTN_GET_DOORBELL)
	s_mov_b32 ttmp2, m0
	s_waitcnt lgkmcnt(0)
	s_and_b32 s0, s0, 0x3ff
	s_delay_alu instid0(SALU_CYCLE_1) | instskip(NEXT) | instid1(SALU_CYCLE_1)
	s_bitset1_b32 s0, 10
	s_mov_b32 m0, s0
	s_sendmsg sendmsg(MSG_INTERRUPT)
	s_mov_b32 m0, ttmp2
.LBB1_31:                               ; =>This Inner Loop Header: Depth=1
	s_sethalt 5
	s_branch .LBB1_31
.Lfunc_end1:
	.size	_Z54ncclDevFunc_ReduceScatter_RING_LL_PreMulSum_bf16_0_0_1v, .Lfunc_end1-_Z54ncclDevFunc_ReduceScatter_RING_LL_PreMulSum_bf16_0_0_1v
                                        ; -- End function
	.section	.AMDGPU.csdata,"",@progbits
; Function info:
; codeLenInByte = 992
; NumSgprs: 40
; NumVgprs: 180
; ScratchSize: 16
; MemoryBound: 0
	.text
	.p2align	2                               ; -- Begin function _ZN12_GLOBAL__N_17runRingI12hip_bfloat1613FuncPreMulSumIS1_E7ProtoLLLi0ELi2ELi0EEEviiP15ncclDevWorkColl
	.type	_ZN12_GLOBAL__N_17runRingI12hip_bfloat1613FuncPreMulSumIS1_E7ProtoLLLi0ELi2ELi0EEEviiP15ncclDevWorkColl,@function
_ZN12_GLOBAL__N_17runRingI12hip_bfloat1613FuncPreMulSumIS1_E7ProtoLLLi0ELi2ELi0EEEviiP15ncclDevWorkColl: ; @_ZN12_GLOBAL__N_17runRingI12hip_bfloat1613FuncPreMulSumIS1_E7ProtoLLLi0ELi2ELi0EEEviiP15ncclDevWorkColl
; %bb.0:
	s_waitcnt vmcnt(0) expcnt(0) lgkmcnt(0)
	s_cbranch_execnz .LBB2_15
; %bb.1:
	v_mov_b32_e32 v4, v0
	s_clause 0x2
	flat_load_b32 v0, v[2:3]
	flat_load_b128 v[5:8], v[2:3] offset:72
	flat_load_b64 v[19:20], v[2:3] offset:88
	s_mov_b32 s0, exec_lo
                                        ; implicit-def: $vgpr17_vgpr18
                                        ; implicit-def: $vgpr25_vgpr26
	s_waitcnt vmcnt(2) lgkmcnt(2)
	v_and_b32_e32 v12, 0xff, v0
	v_bfe_u32 v11, v0, 8, 8
	ds_load_b32 v10, v0
	v_not_b32_e32 v9, v12
	s_delay_alu instid0(VALU_DEP_1)
	v_add_nc_u32_e32 v0, v11, v9
	ds_load_b64 v[23:24], v0
	v_ashrrev_i32_e32 v13, 31, v0
	s_waitcnt vmcnt(1) lgkmcnt(3)
	v_mul_lo_u32 v14, v8, v0
	v_mad_u64_u32 v[54:55], null, v7, v0, 0
	s_delay_alu instid0(VALU_DEP_3) | instskip(SKIP_2) | instid1(VALU_DEP_2)
	v_mul_lo_u32 v0, v7, v13
	s_waitcnt lgkmcnt(1)
	v_readfirstlane_b32 s14, v10
	v_add3_u32 v0, v55, v0, v14
	v_cmpx_ne_u32_e64 v12, v10
	s_xor_b32 s0, exec_lo, s0
	s_cbranch_execz .LBB2_7
; %bb.2:
	s_mov_b32 s1, exec_lo
                                        ; implicit-def: $vgpr17_vgpr18
                                        ; implicit-def: $vgpr25_vgpr26
	v_cmpx_ne_u32_e64 v11, v10
	s_xor_b32 s1, exec_lo, s1
	s_cbranch_execz .LBB2_4
; %bb.3:
	flat_load_b64 v[11:12], v[2:3] offset:96
	v_add_nc_u32_e32 v9, v10, v9
	s_delay_alu instid0(VALU_DEP_1) | instskip(SKIP_2) | instid1(VALU_DEP_3)
	v_ashrrev_i32_e32 v10, 31, v9
	v_mul_lo_u32 v13, v8, v9
	v_mad_u64_u32 v[25:26], null, v7, v9, v[5:6]
	v_mul_lo_u32 v10, v7, v10
	s_delay_alu instid0(VALU_DEP_1)
	v_add3_u32 v26, v13, v26, v10
	s_waitcnt vmcnt(0) lgkmcnt(0)
	v_lshrrev_b64 v[17:18], 18, v[11:12]
.LBB2_4:
	s_and_not1_saveexec_b32 s1, s1
	s_cbranch_execz .LBB2_6
; %bb.5:
	flat_load_b32 v7, v[2:3] offset:100
	v_add_co_u32 v25, vcc_lo, v54, v5
	v_add_co_ci_u32_e32 v26, vcc_lo, v0, v6, vcc_lo
	s_waitcnt vmcnt(0) lgkmcnt(0)
	v_lshrrev_b32_e32 v17, 7, v7
	v_dual_mov_b32 v7, v19 :: v_dual_mov_b32 v8, v20
.LBB2_6:
	s_or_b32 exec_lo, exec_lo, s1
.LBB2_7:
	s_and_not1_saveexec_b32 s0, s0
	s_cbranch_execz .LBB2_9
; %bb.8:
	flat_load_b64 v[7:8], v[2:3] offset:96
	v_mov_b32_e32 v25, 0
	v_mov_b32_e32 v26, 0
	s_waitcnt vmcnt(0) lgkmcnt(0)
	v_lshlrev_b64 v[17:18], 3, v[7:8]
	v_dual_mov_b32 v8, v6 :: v_dual_mov_b32 v7, v5
.LBB2_9:
	s_or_b32 exec_lo, exec_lo, s0
	s_load_b32 s0, s[8:9], 0x0
	v_mov_b32_e32 v15, 0
	flat_load_b64 v[66:67], v[2:3] offset:104
	s_mov_b32 s2, 0
	s_waitcnt lgkmcnt(0)
	s_cmp_lt_u32 s12, s0
	s_cselect_b32 s0, 12, 18
	s_delay_alu instid0(SALU_CYCLE_1)
	s_add_u32 s0, s8, s0
	s_addc_u32 s1, s9, 0
	s_clause 0x2
	flat_load_b128 v[9:12], v[2:3] offset:16
	flat_load_u16 v14, v[2:3] offset:8
	flat_load_b32 v13, v[2:3] offset:4
	global_load_u16 v18, v15, s[0:1]
	s_cbranch_execnz .LBB2_17
; %bb.10:
	ds_load_b32 v2, v0
	s_waitcnt vmcnt(1) lgkmcnt(1)
	v_lshrrev_b64 v[13:14], 31, v[13:14]
	s_delay_alu instid0(VALU_DEP_1)
	v_and_b32_e32 v14, 3, v13
	v_and_b32_e32 v13, 31, v4
	s_waitcnt lgkmcnt(0)
	v_cmp_gt_i32_e32 vcc_lo, 0, v2
	v_readfirstlane_b32 s1, v2
	s_cbranch_vccnz .LBB2_19
; %bb.11:
	v_cmp_eq_u32_e32 vcc_lo, 0, v13
	s_cbranch_execnz .LBB2_23
; %bb.12:
	ds_load_b64 v[15:16], v0
	v_mov_b32_e32 v3, 0
	v_and_b32_e32 v21, 0xffff, v14
	s_mov_b32 s2, 1
	s_delay_alu instid0(VALU_DEP_2) | instskip(SKIP_1) | instid1(VALU_DEP_1)
	v_lshlrev_b64 v[2:3], 3, v[2:3]
	s_waitcnt lgkmcnt(0)
	v_add_co_u32 v2, s0, v15, v2
	s_delay_alu instid0(VALU_DEP_1)
	v_add_co_ci_u32_e64 v3, s0, v16, v3, s0
	flat_load_b64 v[2:3], v[2:3]
	s_waitcnt vmcnt(0) lgkmcnt(0)
	v_mad_u64_u32 v[15:16], null, 0xa8, v21, v[2:3]
	s_clause 0x1
	flat_load_b64 v[29:30], v[15:16] offset:504
	flat_load_b64 v[32:33], v[15:16] offset:608
	v_add_co_u32 v2, s0, 0x1f8, v15
	s_delay_alu instid0(VALU_DEP_1) | instskip(NEXT) | instid1(VALU_DEP_1)
	v_add_co_ci_u32_e64 v3, s0, 0, v16, s0
	v_dual_cndmask_b32 v27, 0, v2 :: v_dual_cndmask_b32 v28, 0, v3
	s_cbranch_execz .LBB2_20
.LBB2_13:
	s_trap 2
	s_sendmsg_rtn_b32 s0, sendmsg(MSG_RTN_GET_DOORBELL)
	s_mov_b32 ttmp2, m0
	s_waitcnt lgkmcnt(0)
	s_and_b32 s0, s0, 0x3ff
	s_delay_alu instid0(SALU_CYCLE_1) | instskip(NEXT) | instid1(SALU_CYCLE_1)
	s_bitset1_b32 s0, 10
	s_mov_b32 m0, s0
	s_sendmsg sendmsg(MSG_INTERRUPT)
	s_mov_b32 m0, ttmp2
.LBB2_14:                               ; =>This Inner Loop Header: Depth=1
	s_sethalt 5
	s_branch .LBB2_14
.LBB2_15:
	s_trap 2
	s_sendmsg_rtn_b32 s0, sendmsg(MSG_RTN_GET_DOORBELL)
	s_mov_b32 ttmp2, m0
	s_waitcnt lgkmcnt(0)
	s_and_b32 s0, s0, 0x3ff
	s_delay_alu instid0(SALU_CYCLE_1) | instskip(NEXT) | instid1(SALU_CYCLE_1)
	s_bitset1_b32 s0, 10
	s_mov_b32 m0, s0
	s_sendmsg sendmsg(MSG_INTERRUPT)
	s_mov_b32 m0, ttmp2
.LBB2_16:                               ; =>This Inner Loop Header: Depth=1
	s_sethalt 5
	s_branch .LBB2_16
.LBB2_17:
	s_trap 2
	s_sendmsg_rtn_b32 s0, sendmsg(MSG_RTN_GET_DOORBELL)
	s_mov_b32 ttmp2, m0
	s_waitcnt lgkmcnt(0)
	s_and_b32 s0, s0, 0x3ff
	s_delay_alu instid0(SALU_CYCLE_1) | instskip(NEXT) | instid1(SALU_CYCLE_1)
	s_bitset1_b32 s0, 10
	s_mov_b32 m0, s0
	s_sendmsg sendmsg(MSG_INTERRUPT)
	s_mov_b32 m0, ttmp2
.LBB2_18:                               ; =>This Inner Loop Header: Depth=1
	s_sethalt 5
	s_branch .LBB2_18
.LBB2_19:
	v_mov_b32_e32 v27, 0
	v_mov_b32_e32 v28, 0
                                        ; implicit-def: $vgpr32_vgpr33
                                        ; implicit-def: $vgpr29_vgpr30
	s_cbranch_execnz .LBB2_13
.LBB2_20:
	ds_load_b32 v2, v0
	v_mov_b32_e32 v36, 0
	v_mov_b32_e32 v37, 0
	s_waitcnt lgkmcnt(0)
	v_cmp_gt_i32_e32 vcc_lo, 0, v2
	s_cbranch_vccnz .LBB2_25
; %bb.21:
	s_cbranch_execnz .LBB2_325
; %bb.22:
	ds_load_b64 v[15:16], v0
	v_mov_b32_e32 v3, 0
	s_delay_alu instid0(VALU_DEP_1) | instskip(SKIP_1) | instid1(VALU_DEP_1)
	v_lshlrev_b64 v[2:3], 3, v[2:3]
	s_waitcnt lgkmcnt(0)
	v_add_co_u32 v2, vcc_lo, v15, v2
	s_delay_alu instid0(VALU_DEP_2)
	v_add_co_ci_u32_e32 v3, vcc_lo, v16, v3, vcc_lo
	v_and_b32_e32 v16, 0xffff, v14
	v_cmp_eq_u32_e32 vcc_lo, 0, v13
	flat_load_b64 v[2:3], v[2:3]
	s_waitcnt vmcnt(0) lgkmcnt(0)
	v_mad_u64_u32 v[14:15], null, 0xa8, v16, v[2:3]
	s_clause 0x1
	flat_load_b64 v[38:39], v[14:15]
	flat_load_b64 v[21:22], v[14:15] offset:104
	v_dual_cndmask_b32 v35, 0, v15 :: v_dual_cndmask_b32 v34, 0, v14
	s_branch .LBB2_26
.LBB2_23:
	s_trap 2
	s_sendmsg_rtn_b32 s0, sendmsg(MSG_RTN_GET_DOORBELL)
	s_mov_b32 ttmp2, m0
	s_waitcnt lgkmcnt(0)
	s_and_b32 s0, s0, 0x3ff
	s_delay_alu instid0(SALU_CYCLE_1) | instskip(NEXT) | instid1(SALU_CYCLE_1)
	s_bitset1_b32 s0, 10
	s_mov_b32 m0, s0
	s_sendmsg sendmsg(MSG_INTERRUPT)
	s_mov_b32 m0, ttmp2
.LBB2_24:                               ; =>This Inner Loop Header: Depth=1
	s_sethalt 5
	s_branch .LBB2_24
.LBB2_25:
	s_delay_alu instid0(VALU_DEP_2)
	v_dual_mov_b32 v34, v36 :: v_dual_mov_b32 v35, v37
                                        ; implicit-def: $vgpr21_vgpr22
                                        ; implicit-def: $vgpr38_vgpr39
.LBB2_26:
	v_subrev_nc_u32_e32 v2, 32, v1
	v_cmp_gt_u32_e64 s0, s2, v13
                                        ; implicit-def: $vgpr48_vgpr49
	s_delay_alu instid0(VALU_DEP_2) | instskip(NEXT) | instid1(VALU_DEP_2)
	v_cmp_le_i32_e32 vcc_lo, v2, v4
	s_and_b32 s11, vcc_lo, s0
	s_delay_alu instid0(SALU_CYCLE_1)
	s_and_saveexec_b32 s0, s11
; %bb.27:
	s_clause 0x1
	flat_load_b64 v[36:37], v[27:28] offset:56
	flat_load_b64 v[48:49], v[27:28] offset:104
; %bb.28:
	s_or_b32 exec_lo, exec_lo, s0
	v_mov_b32_e32 v2, 0
	v_mov_b32_e32 v3, 0
	v_cmp_gt_i32_e64 s0, s2, v4
                                        ; implicit-def: $vgpr52_vgpr53
	s_delay_alu instid0(VALU_DEP_2) | instskip(SKIP_1) | instid1(VALU_DEP_3)
	v_dual_mov_b32 v14, v3 :: v_dual_mov_b32 v13, v2
	v_dual_mov_b32 v51, v3 :: v_dual_mov_b32 v50, v2
	s_and_saveexec_b32 s2, s0
	s_cbranch_execz .LBB2_30
; %bb.29:
	flat_load_b64 v[50:51], v[34:35] offset:56
	s_waitcnt vmcnt(0) lgkmcnt(0)
	flat_load_b64 v[52:53], v[50:51] glc dlc
	s_waitcnt vmcnt(0)
	flat_load_b128 v[13:16], v[34:35] offset:96
.LBB2_30:
	s_or_b32 exec_lo, exec_lo, s2
	s_waitcnt vmcnt(0)
	v_and_b32_e32 v116, 0xffff, v18
	s_mov_b32 s12, exec_lo
	v_cmpx_ne_u64_e32 0, v[7:8]
	s_cbranch_execz .LBB2_313
; %bb.31:
	v_dual_mov_b32 v55, 0 :: v_dual_and_b32 v64, 0xfffff8, v17
	v_add_co_u32 v2, vcc_lo, v19, v5
	s_ashr_i32 s2, s1, 31
	s_delay_alu instid0(VALU_DEP_2)
	v_dual_mov_b32 v65, v55 :: v_dual_lshlrev_b32 v70, 2, v4
	v_add_co_ci_u32_e32 v3, vcc_lo, v20, v6, vcc_lo
	s_lshr_b32 s2, s2, 29
	s_ashr_i32 s15, s14, 31
	v_lshlrev_b32_e32 v117, 16, v66
	v_add_co_u32 v66, vcc_lo, v2, v54
	v_ashrrev_i32_e32 v71, 31, v70
	s_add_i32 s1, s1, s2
	s_lshl_b64 s[2:3], s[14:15], 2
	v_ashrrev_i32_e32 v2, 31, v1
	v_add_co_ci_u32_e32 v67, vcc_lo, v3, v0, vcc_lo
	v_add_co_u32 v0, vcc_lo, v23, s2
	v_add_co_ci_u32_e32 v3, vcc_lo, s3, v24, vcc_lo
	v_lshlrev_b64 v[82:83], 1, v[70:71]
	v_lshrrev_b32_e32 v5, 27, v2
	s_delay_alu instid0(VALU_DEP_4) | instskip(NEXT) | instid1(VALU_DEP_4)
	v_add_co_u32 v68, vcc_lo, v0, -4
	v_add_co_ci_u32_e32 v69, vcc_lo, -1, v3, vcc_lo
	s_delay_alu instid0(VALU_DEP_3)
	v_add_nc_u32_e32 v0, v1, v5
	v_add_co_u32 v119, vcc_lo, v11, v82
	v_lshlrev_b64 v[5:6], 1, v[25:26]
	v_dual_mov_b32 v144, 1 :: v_dual_and_b32 v3, 31, v31
	v_add_co_ci_u32_e32 v128, vcc_lo, v12, v83, vcc_lo
	v_add_co_u32 v129, vcc_lo, v9, v82
	v_add_co_ci_u32_e32 v130, vcc_lo, v10, v83, vcc_lo
	v_ashrrev_i32_e32 v118, 5, v0
	v_cmp_eq_u32_e64 s5, 0, v3
	v_and_b32_e32 v54, 1, v9
	v_lshlrev_b32_e32 v0, 1, v17
	v_lshlrev_b32_e32 v3, 1, v25
	v_add_co_u32 v9, vcc_lo, v119, v5
	v_ashrrev_i32_e32 v5, 31, v4
	v_dual_mov_b32 v145, 0 :: v_dual_lshlrev_b32 v80, 2, v1
	v_and_b32_e32 v131, 0x1fffff0, v0
	v_lshl_add_u32 v0, v4, 3, v3
	v_lshlrev_b32_e32 v3, 4, v17
	v_lshlrev_b64 v[17:18], 4, v[4:5]
	v_ashrrev_i32_e32 v81, 31, v80
	v_add_co_ci_u32_e32 v10, vcc_lo, v128, v6, vcc_lo
	v_mov_b32_e32 v5, 0
	v_mov_b32_e32 v6, 0
	s_ashr_i32 s4, s1, 3
	v_lshlrev_b64 v[86:87], 1, v[80:81]
	v_and_b32_e32 v81, 0xfffff80, v3
	s_waitcnt lgkmcnt(1)
	v_add_co_u32 v134, vcc_lo, v38, v17
	v_lshlrev_b64 v[96:97], 4, v[1:2]
	v_mov_b32_e32 v2, v5
	s_ashr_i32 s13, s1, 7
	v_cmp_ne_u64_e64 s1, 0, v[50:51]
	s_waitcnt lgkmcnt(0)
	v_cmp_ne_u64_e64 s2, 0, v[13:14]
	v_cmp_ne_u64_e64 s6, 0, v[36:37]
	v_lshlrev_b64 v[84:85], 1, v[66:67]
	v_mov_b32_e32 v3, v6
	v_cmp_eq_u64_e64 s7, 0, v[54:55]
	s_and_b32 s15, s4, -16
	v_cmp_ne_u32_e64 s3, 32, v1
	v_cmp_ne_u32_e64 s4, v116, v1
	v_ashrrev_i32_e32 v71, 31, v118
	v_add_lshl_u32 v0, v0, v11, 3
	v_lshlrev_b32_e32 v132, 4, v66
	v_lshlrev_b32_e32 v133, 6, v1
	v_add_co_ci_u32_e32 v135, vcc_lo, v39, v18, vcc_lo
	s_cmp_gt_i32 s14, 2
	s_mov_b32 s16, 0
	s_cselect_b32 s17, -1, 0
.LBB2_32:                               ; =>This Loop Header: Depth=1
                                        ;     Child Loop BB2_39 Depth 2
                                        ;     Child Loop BB2_59 Depth 2
                                        ;     Child Loop BB2_75 Depth 2
                                        ;     Child Loop BB2_98 Depth 2
                                        ;     Child Loop BB2_101 Depth 2
                                        ;       Child Loop BB2_108 Depth 3
                                        ;       Child Loop BB2_128 Depth 3
	;; [unrolled: 1-line block ×3, first 2 shown]
                                        ;         Child Loop BB2_152 Depth 4
                                        ;       Child Loop BB2_204 Depth 3
                                        ;       Child Loop BB2_221 Depth 3
                                        ;     Child Loop BB2_226 Depth 2
                                        ;       Child Loop BB2_234 Depth 3
                                        ;     Child Loop BB2_296 Depth 2
	s_waitcnt vmcnt(0) lgkmcnt(0)
	flat_load_b32 v19, v[68:69]
	v_sub_co_u32 v17, vcc_lo, v7, v5
	v_sub_co_ci_u32_e32 v18, vcc_lo, v8, v6, vcc_lo
	s_delay_alu instid0(VALU_DEP_1) | instskip(SKIP_1) | instid1(VALU_DEP_1)
	v_cmp_lt_u64_e32 vcc_lo, v[64:65], v[17:18]
	v_cndmask_b32_e32 v20, v17, v64, vcc_lo
	v_lshl_add_u32 v17, v20, 2, 12
	s_delay_alu instid0(VALU_DEP_1)
	v_and_b32_e32 v147, 0x7fffff0, v17
	s_and_saveexec_b32 s8, s1
	s_cbranch_execz .LBB2_50
; %bb.33:                               ;   in Loop: Header=BB2_32 Depth=1
	v_add_co_u32 v17, vcc_lo, v15, 1
	v_add_co_ci_u32_e32 v18, vcc_lo, 0, v16, vcc_lo
	v_add_co_u32 v98, vcc_lo, v52, 8
	v_add_co_ci_u32_e32 v99, vcc_lo, 0, v53, vcc_lo
	s_mov_b32 s9, exec_lo
	s_delay_alu instid0(VALU_DEP_1)
	v_cmpx_lt_u64_e64 v[98:99], v[17:18]
	s_cbranch_execz .LBB2_47
; %bb.34:                               ;   in Loop: Header=BB2_32 Depth=1
	s_sleep 1
	flat_load_b64 v[52:53], v[50:51] glc
	v_cmp_eq_u32_e32 vcc_lo, 0, v145
	s_and_saveexec_b32 s10, vcc_lo
	s_cbranch_execz .LBB2_46
; %bb.35:                               ;   in Loop: Header=BB2_32 Depth=1
	v_cndmask_b32_e64 v16, 0, 1, vcc_lo
	s_mov_b32 s18, 0
                                        ; implicit-def: $sgpr19
	s_branch .LBB2_39
.LBB2_36:                               ;   in Loop: Header=BB2_39 Depth=2
	s_or_b32 exec_lo, exec_lo, s22
	s_delay_alu instid0(SALU_CYCLE_1)
	s_or_not1_b32 s22, s23, exec_lo
.LBB2_37:                               ;   in Loop: Header=BB2_39 Depth=2
	s_or_b32 exec_lo, exec_lo, s21
	s_xor_b32 s21, s22, -1
	s_and_not1_b32 s19, s19, exec_lo
	s_and_b32 s21, s21, exec_lo
	s_delay_alu instid0(SALU_CYCLE_1)
	s_or_b32 s19, s19, s21
.LBB2_38:                               ;   in Loop: Header=BB2_39 Depth=2
	s_or_b32 exec_lo, exec_lo, s20
	s_delay_alu instid0(SALU_CYCLE_1) | instskip(NEXT) | instid1(SALU_CYCLE_1)
	s_and_b32 s20, exec_lo, s19
	s_or_b32 s18, s20, s18
	s_delay_alu instid0(SALU_CYCLE_1)
	s_and_not1_b32 exec_lo, exec_lo, s18
	s_cbranch_execz .LBB2_45
.LBB2_39:                               ;   Parent Loop BB2_32 Depth=1
                                        ; =>  This Inner Loop Header: Depth=2
	s_waitcnt vmcnt(0) lgkmcnt(0)
	v_add_co_u32 v98, vcc_lo, v52, 8
	v_add_co_ci_u32_e32 v99, vcc_lo, 0, v53, vcc_lo
	v_mov_b32_e32 v145, 0
	s_or_b32 s19, s19, exec_lo
	s_mov_b32 s20, exec_lo
	s_delay_alu instid0(VALU_DEP_2)
	v_cmpx_lt_u64_e64 v[98:99], v[17:18]
	s_cbranch_execz .LBB2_38
; %bb.40:                               ;   in Loop: Header=BB2_39 Depth=2
	s_sleep 1
	flat_load_b64 v[52:53], v[50:51] glc
	v_dual_mov_b32 v145, 0 :: v_dual_add_nc_u32 v16, 1, v16
	s_mov_b32 s22, -1
	s_mov_b32 s21, exec_lo
	s_delay_alu instid0(VALU_DEP_1)
	v_cmpx_eq_u32_e32 0x2710, v16
	s_cbranch_execz .LBB2_37
; %bb.41:                               ;   in Loop: Header=BB2_39 Depth=2
	s_cbranch_execnz .LBB2_331
; %bb.42:                               ;   in Loop: Header=BB2_39 Depth=2
	ds_load_b64 v[98:99], v0
	v_dual_mov_b32 v16, 0 :: v_dual_mov_b32 v145, 0
	s_mov_b32 s23, -1
	s_mov_b32 s22, exec_lo
	s_waitcnt vmcnt(0) lgkmcnt(0)
	s_waitcnt_vscnt null, 0x0
	flat_load_b32 v54, v[98:99] glc
	s_waitcnt vmcnt(0) lgkmcnt(0)
	buffer_gl1_inv
	buffer_gl0_inv
	v_cmpx_ne_u32_e32 0, v54
	s_cbranch_execz .LBB2_36
; %bb.43:                               ;   in Loop: Header=BB2_39 Depth=2
	ds_store_b32 v0, v54
	s_cbranch_execnz .LBB2_356
; %bb.44:                               ;   in Loop: Header=BB2_39 Depth=2
	v_mov_b32_e32 v145, 1
	s_xor_b32 s23, exec_lo, -1
	s_branch .LBB2_36
.LBB2_45:                               ;   in Loop: Header=BB2_32 Depth=1
	s_or_b32 exec_lo, exec_lo, s18
.LBB2_46:                               ;   in Loop: Header=BB2_32 Depth=1
	s_delay_alu instid0(SALU_CYCLE_1)
	s_or_b32 exec_lo, exec_lo, s10
.LBB2_47:                               ;   in Loop: Header=BB2_32 Depth=1
	s_delay_alu instid0(SALU_CYCLE_1)
	s_or_b32 exec_lo, exec_lo, s9
	s_and_saveexec_b32 s9, s2
	s_cbranch_execz .LBB2_49
; %bb.48:                               ;   in Loop: Header=BB2_32 Depth=1
	v_and_b32_e32 v54, 0x7ffffff8, v15
	v_and_b32_e32 v16, 7, v15
	s_delay_alu instid0(VALU_DEP_2) | instskip(NEXT) | instid1(VALU_DEP_2)
	v_cmp_eq_u64_e32 vcc_lo, 0x7ffffff8, v[54:55]
	v_mad_u64_u32 v[98:99], null, v16, 24, v[13:14]
	v_cndmask_b32_e64 v15, v147, s15, vcc_lo
	s_delay_alu instid0(VALU_DEP_1)
	v_ashrrev_i32_e32 v16, 31, v15
	flat_store_b64 v[98:99], v[15:16] offset:8 dlc
	s_waitcnt_vscnt null, 0x0
.LBB2_49:                               ;   in Loop: Header=BB2_32 Depth=1
	s_or_b32 exec_lo, exec_lo, s9
	v_dual_mov_b32 v15, v17 :: v_dual_mov_b32 v16, v18
.LBB2_50:                               ;   in Loop: Header=BB2_32 Depth=1
	s_or_b32 exec_lo, exec_lo, s8
	s_and_saveexec_b32 s8, s3
	s_cbranch_execz .LBB2_72
; %bb.51:                               ;   in Loop: Header=BB2_32 Depth=1
	s_and_saveexec_b32 s9, s4
	s_delay_alu instid0(SALU_CYCLE_1)
	s_xor_b32 s9, exec_lo, s9
	s_cbranch_execz .LBB2_69
; %bb.52:                               ;   in Loop: Header=BB2_32 Depth=1
	s_and_saveexec_b32 s10, s5
	s_cbranch_execz .LBB2_68
; %bb.53:                               ;   in Loop: Header=BB2_32 Depth=1
	s_mov_b32 s19, exec_lo
	s_mov_b32 s18, exec_lo
	v_mbcnt_lo_u32_b32 v17, s19, 0
	s_waitcnt vmcnt(0) lgkmcnt(0)
	s_waitcnt_vscnt null, 0x0
	buffer_gl1_inv
	buffer_gl0_inv
	v_cmpx_eq_u32_e32 0, v17
	s_cbranch_execz .LBB2_55
; %bb.54:                               ;   in Loop: Header=BB2_32 Depth=1
	s_bcnt1_i32_b32 s19, s19
	s_delay_alu instid0(SALU_CYCLE_1)
	v_mov_b32_e32 v54, s19
	ds_add_u64 v0, v[54:55]
	s_cbranch_execnz .LBB2_350
.LBB2_55:                               ;   in Loop: Header=BB2_32 Depth=1
	s_or_b32 exec_lo, exec_lo, s18
	s_cbranch_execnz .LBB2_337
; %bb.56:                               ;   in Loop: Header=BB2_32 Depth=1
	ds_load_b64 v[17:18], v0
	v_add_co_u32 v2, vcc_lo, v2, v118
	v_add_co_ci_u32_e32 v3, vcc_lo, v3, v71, vcc_lo
	s_mov_b32 s18, exec_lo
	s_waitcnt lgkmcnt(0)
	s_delay_alu instid0(VALU_DEP_1)
	v_cmpx_lt_u64_e64 v[17:18], v[2:3]
	s_cbranch_execz .LBB2_67
; %bb.57:                               ;   in Loop: Header=BB2_32 Depth=1
	s_mov_b32 s19, 0
	s_mov_b32 s22, 0
                                        ; implicit-def: $sgpr20
                                        ; implicit-def: $sgpr21
	s_branch .LBB2_59
.LBB2_58:                               ;   in Loop: Header=BB2_59 Depth=2
	s_or_b32 exec_lo, exec_lo, s25
	s_delay_alu instid0(SALU_CYCLE_1) | instskip(NEXT) | instid1(SALU_CYCLE_1)
	s_and_b32 s23, exec_lo, s24
	s_or_b32 s19, s23, s19
	s_and_not1_b32 s20, s20, exec_lo
	s_and_b32 s23, s21, exec_lo
	s_delay_alu instid0(SALU_CYCLE_1)
	s_or_b32 s20, s20, s23
	s_and_not1_b32 exec_lo, exec_lo, s19
	s_cbranch_execz .LBB2_65
.LBB2_59:                               ;   Parent Loop BB2_32 Depth=1
                                        ; =>  This Inner Loop Header: Depth=2
	s_add_i32 s22, s22, 1
                                        ; implicit-def: $sgpr24
	s_delay_alu instid0(SALU_CYCLE_1) | instskip(SKIP_1) | instid1(SALU_CYCLE_1)
	s_cmpk_lg_i32 s22, 0x2710
	s_cselect_b32 s23, -1, 0
	s_and_b32 vcc_lo, exec_lo, s23
	s_cbranch_vccz .LBB2_63
.LBB2_60:                               ;   in Loop: Header=BB2_59 Depth=2
	s_and_not1_b32 s21, s21, exec_lo
	s_and_b32 s25, s24, exec_lo
	s_mov_b32 s24, -1
	s_or_b32 s21, s21, s25
	s_and_saveexec_b32 s25, s23
	s_cbranch_execz .LBB2_58
; %bb.61:                               ;   in Loop: Header=BB2_59 Depth=2
	s_sleep 1
	s_cbranch_execnz .LBB2_364
; %bb.62:                               ;   in Loop: Header=BB2_59 Depth=2
	ds_load_b64 v[17:18], v0
	s_and_not1_b32 s21, s21, exec_lo
	s_waitcnt lgkmcnt(0)
	v_cmp_ge_u64_e32 vcc_lo, v[17:18], v[2:3]
	s_or_not1_b32 s24, vcc_lo, exec_lo
	s_branch .LBB2_58
.LBB2_63:                               ;   in Loop: Header=BB2_59 Depth=2
	s_cbranch_execnz .LBB2_372
; %bb.64:                               ;   in Loop: Header=BB2_59 Depth=2
	ds_load_b64 v[17:18], v0
	s_and_not1_b32 s23, s23, exec_lo
	s_mov_b32 s22, 0
	s_mov_b32 s24, -1
	s_waitcnt lgkmcnt(0)
	flat_load_b32 v17, v[17:18] glc
	s_waitcnt vmcnt(0) lgkmcnt(0)
	buffer_gl1_inv
	buffer_gl0_inv
	v_cmp_eq_u32_e32 vcc_lo, 0, v17
	s_and_b32 s25, vcc_lo, exec_lo
	s_delay_alu instid0(SALU_CYCLE_1)
	s_or_b32 s23, s23, s25
	s_branch .LBB2_60
.LBB2_65:                               ;   in Loop: Header=BB2_32 Depth=1
	s_or_b32 exec_lo, exec_lo, s19
	s_and_saveexec_b32 s19, s20
	s_delay_alu instid0(SALU_CYCLE_1)
	s_xor_b32 s19, exec_lo, s19
	s_cbranch_execz .LBB2_67
; %bb.66:                               ;   in Loop: Header=BB2_32 Depth=1
	ds_store_b32 v0, v144
	s_cbranch_execnz .LBB2_397
.LBB2_67:                               ;   in Loop: Header=BB2_32 Depth=1
	s_or_b32 exec_lo, exec_lo, s18
	;;#ASMSTART
	s_wakeup
	;;#ASMEND
.LBB2_68:                               ;   in Loop: Header=BB2_32 Depth=1
	s_or_b32 exec_lo, exec_lo, s10
.LBB2_69:                               ;   in Loop: Header=BB2_32 Depth=1
	s_and_not1_saveexec_b32 s9, s9
	s_cbranch_execz .LBB2_71
; %bb.70:                               ;   in Loop: Header=BB2_32 Depth=1
	s_waitcnt vmcnt(0) lgkmcnt(0)
	s_waitcnt_vscnt null, 0x0
	buffer_gl1_inv
	buffer_gl0_inv
	s_barrier
.LBB2_71:                               ;   in Loop: Header=BB2_32 Depth=1
	s_or_b32 exec_lo, exec_lo, s9
.LBB2_72:                               ;   in Loop: Header=BB2_32 Depth=1
	s_delay_alu instid0(SALU_CYCLE_1) | instskip(SKIP_2) | instid1(VALU_DEP_2)
	s_or_b32 exec_lo, exec_lo, s8
	v_sub_nc_u32_e32 v146, v20, v70
	v_mov_b32_e32 v98, v4
	v_cmp_lt_i32_e64 s8, 0, v146
	s_delay_alu instid0(VALU_DEP_1)
	s_and_saveexec_b32 s10, s8
	s_cbranch_execz .LBB2_96
; %bb.73:                               ;   in Loop: Header=BB2_32 Depth=1
	v_dual_mov_b32 v98, v21 :: v_dual_and_b32 v17, 7, v21
	s_waitcnt vmcnt(0) lgkmcnt(0)
	v_ashrrev_i32_e32 v20, 31, v19
	v_mad_u64_u32 v[99:100], null, v84, v19, v[9:10]
	s_delay_alu instid0(VALU_DEP_3) | instskip(SKIP_1) | instid1(VALU_DEP_4)
	v_mul_lo_u32 v17, v17, s13
	v_mul_lo_u32 v103, v85, v19
	;; [unrolled: 1-line block ×3, first 2 shown]
	v_mad_u64_u32 v[101:102], null, v132, v19, v[0:1]
	v_add_co_u32 v114, vcc_lo, 0, 0
	v_mov_b32_e32 v54, v146
	v_ashrrev_i32_e32 v18, 31, v17
	s_mov_b32 s18, 0
	v_add3_u32 v100, v103, v100, v112
	s_delay_alu instid0(VALU_DEP_2) | instskip(SKIP_2) | instid1(VALU_DEP_3)
	v_lshlrev_b64 v[19:20], 4, v[17:18]
	v_add_co_ci_u32_e32 v18, vcc_lo, 1, v98, vcc_lo
	v_mov_b32_e32 v98, v4
	v_add_co_u32 v102, vcc_lo, v134, v19
	s_delay_alu instid0(VALU_DEP_4)
	v_add_co_ci_u32_e32 v103, vcc_lo, v135, v20, vcc_lo
	s_branch .LBB2_75
.LBB2_74:                               ;   in Loop: Header=BB2_75 Depth=2
	s_or_b32 exec_lo, exec_lo, s9
	v_and_b32_e32 v19, 0xffff0000, v19
	v_lshrrev_b32_e32 v17, 16, v17
	v_lshrrev_b32_e32 v112, 16, v20
	v_dual_mov_b32 v20, v18 :: v_dual_and_b32 v113, 0xffff0000, v113
	v_sub_nc_u32_e32 v54, v54, v80
	s_delay_alu instid0(VALU_DEP_4) | instskip(SKIP_1) | instid1(VALU_DEP_4)
	v_or3_b32 v17, v19, v17, v114
	v_add_co_u32 v99, vcc_lo, v99, v86
	v_or3_b32 v19, v113, v112, v114
	v_add_co_ci_u32_e32 v100, vcc_lo, v100, v87, vcc_lo
	v_cmp_gt_i32_e32 vcc_lo, 1, v54
	v_add_nc_u32_e32 v98, v98, v1
	global_store_b128 v[102:103], v[17:20], off
	v_add_co_u32 v102, s9, v102, v96
	v_add_nc_u32_e32 v101, v101, v133
	v_add_co_ci_u32_e64 v103, s9, v103, v97, s9
	s_or_b32 s18, vcc_lo, s18
	s_delay_alu instid0(SALU_CYCLE_1)
	s_and_not1_b32 exec_lo, exec_lo, s18
	s_cbranch_execz .LBB2_95
.LBB2_75:                               ;   Parent Loop BB2_32 Depth=1
                                        ; =>  This Inner Loop Header: Depth=2
	v_dual_mov_b32 v20, v100 :: v_dual_and_b32 v19, -4, v99
	v_min_u32_e32 v112, 4, v54
	v_dual_mov_b32 v148, 0 :: v_dual_and_b32 v113, 3, v99
	v_mov_b32_e32 v115, 0
	flat_load_b32 v17, v[19:20] glc
	v_lshlrev_b32_e32 v112, 1, v112
	s_delay_alu instid0(VALU_DEP_1) | instskip(NEXT) | instid1(VALU_DEP_1)
	v_add_co_u32 v112, s9, v113, v112
	v_add_co_ci_u32_e64 v113, null, 0, 0, s9
	s_mov_b32 s9, exec_lo
	s_delay_alu instid0(VALU_DEP_1)
	v_cmpx_lt_u64_e32 4, v[112:113]
	s_cbranch_execz .LBB2_77
; %bb.76:                               ;   in Loop: Header=BB2_75 Depth=2
	flat_load_b32 v148, v[19:20] offset:4 glc
.LBB2_77:                               ;   in Loop: Header=BB2_75 Depth=2
	s_or_b32 exec_lo, exec_lo, s9
	s_delay_alu instid0(SALU_CYCLE_1)
	s_mov_b32 s9, exec_lo
	v_cmpx_lt_u64_e32 8, v[112:113]
	s_cbranch_execz .LBB2_79
; %bb.78:                               ;   in Loop: Header=BB2_75 Depth=2
	flat_load_b32 v115, v[19:20] offset:8 glc
.LBB2_79:                               ;   in Loop: Header=BB2_75 Depth=2
	s_or_b32 exec_lo, exec_lo, s9
	s_waitcnt vmcnt(0) lgkmcnt(0)
	v_alignbit_b32 v19, v148, v17, v101
	s_delay_alu instid0(VALU_DEP_1) | instskip(NEXT) | instid1(VALU_DEP_1)
	v_lshlrev_b32_e32 v17, 16, v19
	v_mul_f32_e32 v20, v117, v17
	s_delay_alu instid0(VALU_DEP_1) | instskip(NEXT) | instid1(VALU_DEP_1)
	v_and_b32_e32 v17, 0x7f800000, v20
	v_cmp_ne_u32_e32 vcc_lo, 0x7f800000, v17
                                        ; implicit-def: $vgpr17
	s_and_saveexec_b32 s9, vcc_lo
	s_delay_alu instid0(SALU_CYCLE_1)
	s_xor_b32 s9, exec_lo, s9
; %bb.80:                               ;   in Loop: Header=BB2_75 Depth=2
	v_bfe_u32 v17, v20, 16, 1
	s_delay_alu instid0(VALU_DEP_1)
	v_add3_u32 v17, v20, v17, 0x7fff
                                        ; implicit-def: $vgpr20
; %bb.81:                               ;   in Loop: Header=BB2_75 Depth=2
	s_and_not1_saveexec_b32 s9, s9
; %bb.82:                               ;   in Loop: Header=BB2_75 Depth=2
	v_and_b32_e32 v17, 0xffff, v20
	v_or_b32_e32 v112, 0x10000, v20
	s_delay_alu instid0(VALU_DEP_2) | instskip(NEXT) | instid1(VALU_DEP_2)
	v_cmp_eq_u32_e32 vcc_lo, 0, v17
	v_cndmask_b32_e32 v17, v112, v20, vcc_lo
; %bb.83:                               ;   in Loop: Header=BB2_75 Depth=2
	s_or_b32 exec_lo, exec_lo, s9
	v_and_b32_e32 v19, 0xffff0000, v19
	s_delay_alu instid0(VALU_DEP_1) | instskip(NEXT) | instid1(VALU_DEP_1)
	v_mul_f32_e32 v20, v117, v19
	v_and_b32_e32 v19, 0x7f800000, v20
	s_delay_alu instid0(VALU_DEP_1) | instskip(SKIP_1) | instid1(SALU_CYCLE_1)
	v_cmp_ne_u32_e32 vcc_lo, 0x7f800000, v19
                                        ; implicit-def: $vgpr19
	s_and_saveexec_b32 s9, vcc_lo
	s_xor_b32 s9, exec_lo, s9
; %bb.84:                               ;   in Loop: Header=BB2_75 Depth=2
	v_bfe_u32 v19, v20, 16, 1
	s_delay_alu instid0(VALU_DEP_1)
	v_add3_u32 v19, v20, v19, 0x7fff
                                        ; implicit-def: $vgpr20
; %bb.85:                               ;   in Loop: Header=BB2_75 Depth=2
	s_and_not1_saveexec_b32 s9, s9
; %bb.86:                               ;   in Loop: Header=BB2_75 Depth=2
	v_and_b32_e32 v19, 0xffff, v20
	v_or_b32_e32 v112, 0x10000, v20
	s_delay_alu instid0(VALU_DEP_2) | instskip(NEXT) | instid1(VALU_DEP_2)
	v_cmp_eq_u32_e32 vcc_lo, 0, v19
	v_cndmask_b32_e32 v19, v112, v20, vcc_lo
; %bb.87:                               ;   in Loop: Header=BB2_75 Depth=2
	s_or_b32 exec_lo, exec_lo, s9
	v_alignbit_b32 v112, v115, v148, v101
	s_delay_alu instid0(VALU_DEP_1) | instskip(NEXT) | instid1(VALU_DEP_1)
	v_lshlrev_b32_e32 v20, 16, v112
	v_mul_f32_e32 v113, v117, v20
	s_delay_alu instid0(VALU_DEP_1) | instskip(NEXT) | instid1(VALU_DEP_1)
	v_and_b32_e32 v20, 0x7f800000, v113
	v_cmp_ne_u32_e32 vcc_lo, 0x7f800000, v20
                                        ; implicit-def: $vgpr20
	s_and_saveexec_b32 s9, vcc_lo
	s_delay_alu instid0(SALU_CYCLE_1)
	s_xor_b32 s9, exec_lo, s9
; %bb.88:                               ;   in Loop: Header=BB2_75 Depth=2
	v_bfe_u32 v20, v113, 16, 1
	s_delay_alu instid0(VALU_DEP_1)
	v_add3_u32 v20, v113, v20, 0x7fff
                                        ; implicit-def: $vgpr113
; %bb.89:                               ;   in Loop: Header=BB2_75 Depth=2
	s_and_not1_saveexec_b32 s9, s9
; %bb.90:                               ;   in Loop: Header=BB2_75 Depth=2
	v_and_b32_e32 v20, 0xffff, v113
	v_or_b32_e32 v115, 0x10000, v113
	s_delay_alu instid0(VALU_DEP_2) | instskip(NEXT) | instid1(VALU_DEP_2)
	v_cmp_eq_u32_e32 vcc_lo, 0, v20
	v_cndmask_b32_e32 v20, v115, v113, vcc_lo
; %bb.91:                               ;   in Loop: Header=BB2_75 Depth=2
	s_or_b32 exec_lo, exec_lo, s9
	v_and_b32_e32 v112, 0xffff0000, v112
	s_delay_alu instid0(VALU_DEP_1) | instskip(NEXT) | instid1(VALU_DEP_1)
	v_mul_f32_e32 v112, v117, v112
	v_and_b32_e32 v113, 0x7f800000, v112
	s_delay_alu instid0(VALU_DEP_1) | instskip(SKIP_1) | instid1(SALU_CYCLE_1)
	v_cmp_ne_u32_e32 vcc_lo, 0x7f800000, v113
                                        ; implicit-def: $vgpr113
	s_and_saveexec_b32 s9, vcc_lo
	s_xor_b32 s9, exec_lo, s9
; %bb.92:                               ;   in Loop: Header=BB2_75 Depth=2
	v_bfe_u32 v113, v112, 16, 1
	s_delay_alu instid0(VALU_DEP_1)
	v_add3_u32 v113, v112, v113, 0x7fff
                                        ; implicit-def: $vgpr112
; %bb.93:                               ;   in Loop: Header=BB2_75 Depth=2
	s_and_not1_saveexec_b32 s9, s9
	s_cbranch_execz .LBB2_74
; %bb.94:                               ;   in Loop: Header=BB2_75 Depth=2
	v_and_b32_e32 v113, 0xffff, v112
	v_or_b32_e32 v115, 0x10000, v112
	s_delay_alu instid0(VALU_DEP_2) | instskip(NEXT) | instid1(VALU_DEP_2)
	v_cmp_eq_u32_e32 vcc_lo, 0, v113
	v_cndmask_b32_e32 v113, v115, v112, vcc_lo
	s_branch .LBB2_74
.LBB2_95:                               ;   in Loop: Header=BB2_32 Depth=1
	s_or_b32 exec_lo, exec_lo, s18
.LBB2_96:                               ;   in Loop: Header=BB2_32 Depth=1
	s_delay_alu instid0(SALU_CYCLE_1) | instskip(SKIP_2) | instid1(VALU_DEP_2)
	s_or_b32 exec_lo, exec_lo, s10
	v_and_b32_e32 v54, 0x7ffffff8, v21
	v_cmp_gt_i32_e64 s9, s13, v98
	v_cmp_eq_u64_e32 vcc_lo, 0x7ffffff8, v[54:55]
	s_delay_alu instid0(VALU_DEP_2) | instskip(NEXT) | instid1(SALU_CYCLE_1)
	s_and_b32 s9, vcc_lo, s9
	s_and_saveexec_b32 s10, s9
	s_cbranch_execz .LBB2_99
; %bb.97:                               ;   in Loop: Header=BB2_32 Depth=1
	v_dual_mov_b32 v54, v21 :: v_dual_and_b32 v17, 7, v21
	v_ashrrev_i32_e32 v99, 31, v98
	s_mov_b32 s18, 0
	s_delay_alu instid0(VALU_DEP_2) | instskip(SKIP_1) | instid1(VALU_DEP_2)
	v_mul_lo_u32 v17, v17, s13
	s_waitcnt vmcnt(0) lgkmcnt(0)
	v_lshlrev_b64 v[19:20], 4, v[98:99]
	s_delay_alu instid0(VALU_DEP_2) | instskip(NEXT) | instid1(VALU_DEP_1)
	v_ashrrev_i32_e32 v18, 31, v17
	v_lshlrev_b64 v[17:18], 4, v[17:18]
	s_delay_alu instid0(VALU_DEP_1) | instskip(NEXT) | instid1(VALU_DEP_2)
	v_add_co_u32 v19, vcc_lo, v19, v17
	v_add_co_ci_u32_e32 v20, vcc_lo, v20, v18, vcc_lo
	v_add_co_u32 v17, vcc_lo, 0, 0
	v_add_co_ci_u32_e32 v18, vcc_lo, 1, v54, vcc_lo
	s_delay_alu instid0(VALU_DEP_4) | instskip(NEXT) | instid1(VALU_DEP_4)
	v_add_co_u32 v99, vcc_lo, v38, v19
	v_add_co_ci_u32_e32 v100, vcc_lo, v39, v20, vcc_lo
.LBB2_98:                               ;   Parent Loop BB2_32 Depth=1
                                        ; =>  This Inner Loop Header: Depth=2
	s_delay_alu instid0(VALU_DEP_4) | instskip(NEXT) | instid1(VALU_DEP_4)
	v_dual_mov_b32 v19, v17 :: v_dual_add_nc_u32 v98, v98, v1
	v_mov_b32_e32 v20, v18
	s_delay_alu instid0(VALU_DEP_2) | instskip(SKIP_2) | instid1(VALU_DEP_1)
	v_cmp_le_i32_e32 vcc_lo, s13, v98
	global_store_b128 v[99:100], v[17:20], off
	v_add_co_u32 v99, s9, v99, v96
	v_add_co_ci_u32_e64 v100, s9, v100, v97, s9
	s_or_b32 s18, vcc_lo, s18
	s_delay_alu instid0(SALU_CYCLE_1)
	s_and_not1_b32 exec_lo, exec_lo, s18
	s_cbranch_execnz .LBB2_98
.LBB2_99:                               ;   in Loop: Header=BB2_32 Depth=1
	s_or_b32 exec_lo, exec_lo, s10
	v_add_co_u32 v98, vcc_lo, v5, v25
	v_add_co_ci_u32_e32 v99, vcc_lo, v6, v26, vcc_lo
	v_add_co_u32 v100, vcc_lo, v21, 1
	v_add_co_ci_u32_e32 v101, vcc_lo, 0, v22, vcc_lo
	s_and_not1_b32 vcc_lo, exec_lo, s17
	s_cbranch_vccnz .LBB2_223
; %bb.100:                              ;   in Loop: Header=BB2_32 Depth=1
	v_lshlrev_b64 v[17:18], 1, v[98:99]
	v_add_nc_u16 v150, v21, 1
	s_mov_b32 s18, 2
	s_delay_alu instid0(VALU_DEP_2) | instskip(NEXT) | instid1(VALU_DEP_3)
	v_add_co_u32 v148, vcc_lo, v119, v17
	v_add_co_ci_u32_e32 v149, vcc_lo, v128, v18, vcc_lo
.LBB2_101:                              ;   Parent Loop BB2_32 Depth=1
                                        ; =>  This Loop Header: Depth=2
                                        ;       Child Loop BB2_108 Depth 3
                                        ;       Child Loop BB2_128 Depth 3
	;; [unrolled: 1-line block ×3, first 2 shown]
                                        ;         Child Loop BB2_152 Depth 4
                                        ;       Child Loop BB2_204 Depth 3
                                        ;       Child Loop BB2_221 Depth 3
	s_sub_i32 s20, s14, s18
	s_delay_alu instid0(SALU_CYCLE_1) | instskip(NEXT) | instid1(SALU_CYCLE_1)
	s_ashr_i32 s21, s20, 31
	s_lshl_b64 s[20:21], s[20:21], 2
	s_delay_alu instid0(SALU_CYCLE_1)
	v_add_co_u32 v17, vcc_lo, v23, s20
	v_add_co_ci_u32_e32 v18, vcc_lo, s21, v24, vcc_lo
	s_waitcnt vmcnt(0) lgkmcnt(0)
	flat_load_b32 v19, v[17:18]
	s_and_saveexec_b32 s9, s1
	s_cbranch_execz .LBB2_119
; %bb.102:                              ;   in Loop: Header=BB2_101 Depth=2
	v_add_co_u32 v17, vcc_lo, v15, 1
	v_add_co_ci_u32_e32 v18, vcc_lo, 0, v16, vcc_lo
	v_add_co_u32 v20, vcc_lo, v52, 8
	v_add_co_ci_u32_e32 v21, vcc_lo, 0, v53, vcc_lo
	s_mov_b32 s10, exec_lo
	s_delay_alu instid0(VALU_DEP_1)
	v_cmpx_lt_u64_e64 v[20:21], v[17:18]
	s_cbranch_execz .LBB2_116
; %bb.103:                              ;   in Loop: Header=BB2_101 Depth=2
	s_sleep 1
	flat_load_b64 v[52:53], v[50:51] glc
	v_cmp_eq_u32_e32 vcc_lo, 0, v145
	s_and_saveexec_b32 s19, vcc_lo
	s_cbranch_execz .LBB2_115
; %bb.104:                              ;   in Loop: Header=BB2_101 Depth=2
	v_cndmask_b32_e64 v16, 0, 1, vcc_lo
	s_mov_b32 s20, 0
                                        ; implicit-def: $sgpr21
	s_branch .LBB2_108
.LBB2_105:                              ;   in Loop: Header=BB2_108 Depth=3
	s_or_b32 exec_lo, exec_lo, s24
	s_delay_alu instid0(SALU_CYCLE_1)
	s_or_not1_b32 s24, s25, exec_lo
.LBB2_106:                              ;   in Loop: Header=BB2_108 Depth=3
	s_or_b32 exec_lo, exec_lo, s23
	s_xor_b32 s23, s24, -1
	s_and_not1_b32 s21, s21, exec_lo
	s_and_b32 s23, s23, exec_lo
	s_delay_alu instid0(SALU_CYCLE_1)
	s_or_b32 s21, s21, s23
.LBB2_107:                              ;   in Loop: Header=BB2_108 Depth=3
	s_or_b32 exec_lo, exec_lo, s22
	s_delay_alu instid0(SALU_CYCLE_1) | instskip(NEXT) | instid1(SALU_CYCLE_1)
	s_and_b32 s22, exec_lo, s21
	s_or_b32 s20, s22, s20
	s_delay_alu instid0(SALU_CYCLE_1)
	s_and_not1_b32 exec_lo, exec_lo, s20
	s_cbranch_execz .LBB2_114
.LBB2_108:                              ;   Parent Loop BB2_32 Depth=1
                                        ;     Parent Loop BB2_101 Depth=2
                                        ; =>    This Inner Loop Header: Depth=3
	s_waitcnt vmcnt(0) lgkmcnt(0)
	v_add_co_u32 v20, vcc_lo, v52, 8
	v_add_co_ci_u32_e32 v21, vcc_lo, 0, v53, vcc_lo
	v_mov_b32_e32 v145, 0
	s_or_b32 s21, s21, exec_lo
	s_mov_b32 s22, exec_lo
	s_delay_alu instid0(VALU_DEP_2)
	v_cmpx_lt_u64_e64 v[20:21], v[17:18]
	s_cbranch_execz .LBB2_107
; %bb.109:                              ;   in Loop: Header=BB2_108 Depth=3
	s_sleep 1
	flat_load_b64 v[52:53], v[50:51] glc
	v_dual_mov_b32 v145, 0 :: v_dual_add_nc_u32 v16, 1, v16
	s_mov_b32 s24, -1
	s_mov_b32 s23, exec_lo
	s_delay_alu instid0(VALU_DEP_1)
	v_cmpx_eq_u32_e32 0x2710, v16
	s_cbranch_execz .LBB2_106
; %bb.110:                              ;   in Loop: Header=BB2_108 Depth=3
	s_cbranch_execnz .LBB2_333
; %bb.111:                              ;   in Loop: Header=BB2_108 Depth=3
	ds_load_b64 v[20:21], v0
	v_dual_mov_b32 v16, 0 :: v_dual_mov_b32 v145, 0
	s_mov_b32 s25, -1
	s_mov_b32 s24, exec_lo
	s_waitcnt vmcnt(0) lgkmcnt(0)
	s_waitcnt_vscnt null, 0x0
	flat_load_b32 v20, v[20:21] glc
	s_waitcnt vmcnt(0) lgkmcnt(0)
	buffer_gl1_inv
	buffer_gl0_inv
	v_cmpx_ne_u32_e32 0, v20
	s_cbranch_execz .LBB2_105
; %bb.112:                              ;   in Loop: Header=BB2_108 Depth=3
	ds_store_b32 v0, v20
	s_cbranch_execnz .LBB2_360
; %bb.113:                              ;   in Loop: Header=BB2_108 Depth=3
	v_mov_b32_e32 v145, 1
	s_xor_b32 s25, exec_lo, -1
	s_branch .LBB2_105
.LBB2_114:                              ;   in Loop: Header=BB2_101 Depth=2
	s_or_b32 exec_lo, exec_lo, s20
.LBB2_115:                              ;   in Loop: Header=BB2_101 Depth=2
	s_delay_alu instid0(SALU_CYCLE_1)
	s_or_b32 exec_lo, exec_lo, s19
.LBB2_116:                              ;   in Loop: Header=BB2_101 Depth=2
	s_delay_alu instid0(SALU_CYCLE_1)
	s_or_b32 exec_lo, exec_lo, s10
	s_and_saveexec_b32 s10, s2
	s_cbranch_execz .LBB2_118
; %bb.117:                              ;   in Loop: Header=BB2_101 Depth=2
	v_and_b32_e32 v54, 0x7ffffff8, v15
	v_and_b32_e32 v16, 7, v15
	s_delay_alu instid0(VALU_DEP_2) | instskip(NEXT) | instid1(VALU_DEP_2)
	v_cmp_eq_u64_e32 vcc_lo, 0x7ffffff8, v[54:55]
	v_mad_u64_u32 v[20:21], null, v16, 24, v[13:14]
	v_cndmask_b32_e64 v15, v147, s15, vcc_lo
	s_delay_alu instid0(VALU_DEP_1)
	v_ashrrev_i32_e32 v16, 31, v15
	flat_store_b64 v[20:21], v[15:16] offset:8 dlc
	s_waitcnt_vscnt null, 0x0
.LBB2_118:                              ;   in Loop: Header=BB2_101 Depth=2
	s_or_b32 exec_lo, exec_lo, s10
	v_dual_mov_b32 v15, v17 :: v_dual_mov_b32 v16, v18
.LBB2_119:                              ;   in Loop: Header=BB2_101 Depth=2
	s_or_b32 exec_lo, exec_lo, s9
	s_and_saveexec_b32 s9, s3
	s_cbranch_execz .LBB2_141
; %bb.120:                              ;   in Loop: Header=BB2_101 Depth=2
	s_and_saveexec_b32 s10, s4
	s_delay_alu instid0(SALU_CYCLE_1)
	s_xor_b32 s10, exec_lo, s10
	s_cbranch_execz .LBB2_138
; %bb.121:                              ;   in Loop: Header=BB2_101 Depth=2
	s_and_saveexec_b32 s19, s5
	s_cbranch_execz .LBB2_137
; %bb.122:                              ;   in Loop: Header=BB2_101 Depth=2
	s_mov_b32 s21, exec_lo
	s_mov_b32 s20, exec_lo
	v_mbcnt_lo_u32_b32 v17, s21, 0
	s_waitcnt vmcnt(0) lgkmcnt(0)
	s_waitcnt_vscnt null, 0x0
	buffer_gl1_inv
	buffer_gl0_inv
	v_cmpx_eq_u32_e32 0, v17
	s_cbranch_execz .LBB2_124
; %bb.123:                              ;   in Loop: Header=BB2_101 Depth=2
	s_bcnt1_i32_b32 s21, s21
	s_delay_alu instid0(SALU_CYCLE_1)
	v_mov_b32_e32 v54, s21
	ds_add_u64 v0, v[54:55]
	s_cbranch_execnz .LBB2_358
.LBB2_124:                              ;   in Loop: Header=BB2_101 Depth=2
	s_or_b32 exec_lo, exec_lo, s20
	s_cbranch_execnz .LBB2_352
; %bb.125:                              ;   in Loop: Header=BB2_101 Depth=2
	ds_load_b64 v[17:18], v0
	v_add_co_u32 v2, vcc_lo, v2, v118
	v_add_co_ci_u32_e32 v3, vcc_lo, v3, v71, vcc_lo
	s_mov_b32 s20, exec_lo
	s_waitcnt lgkmcnt(0)
	s_delay_alu instid0(VALU_DEP_1)
	v_cmpx_lt_u64_e64 v[17:18], v[2:3]
	s_cbranch_execz .LBB2_136
; %bb.126:                              ;   in Loop: Header=BB2_101 Depth=2
	s_mov_b32 s21, 0
	s_mov_b32 s24, 0
                                        ; implicit-def: $sgpr22
                                        ; implicit-def: $sgpr23
	s_branch .LBB2_128
.LBB2_127:                              ;   in Loop: Header=BB2_128 Depth=3
	s_or_b32 exec_lo, exec_lo, s27
	s_delay_alu instid0(SALU_CYCLE_1) | instskip(NEXT) | instid1(SALU_CYCLE_1)
	s_and_b32 s25, exec_lo, s26
	s_or_b32 s21, s25, s21
	s_and_not1_b32 s22, s22, exec_lo
	s_and_b32 s25, s23, exec_lo
	s_delay_alu instid0(SALU_CYCLE_1)
	s_or_b32 s22, s22, s25
	s_and_not1_b32 exec_lo, exec_lo, s21
	s_cbranch_execz .LBB2_134
.LBB2_128:                              ;   Parent Loop BB2_32 Depth=1
                                        ;     Parent Loop BB2_101 Depth=2
                                        ; =>    This Inner Loop Header: Depth=3
	s_add_i32 s24, s24, 1
                                        ; implicit-def: $sgpr26
	s_delay_alu instid0(SALU_CYCLE_1) | instskip(SKIP_1) | instid1(SALU_CYCLE_1)
	s_cmpk_lg_i32 s24, 0x2710
	s_cselect_b32 s25, -1, 0
	s_and_b32 vcc_lo, exec_lo, s25
	s_cbranch_vccz .LBB2_132
.LBB2_129:                              ;   in Loop: Header=BB2_128 Depth=3
	s_and_not1_b32 s23, s23, exec_lo
	s_and_b32 s27, s26, exec_lo
	s_mov_b32 s26, -1
	s_or_b32 s23, s23, s27
	s_and_saveexec_b32 s27, s25
	s_cbranch_execz .LBB2_127
; %bb.130:                              ;   in Loop: Header=BB2_128 Depth=3
	s_sleep 1
	s_cbranch_execnz .LBB2_376
; %bb.131:                              ;   in Loop: Header=BB2_128 Depth=3
	ds_load_b64 v[17:18], v0
	s_and_not1_b32 s23, s23, exec_lo
	s_waitcnt lgkmcnt(0)
	v_cmp_ge_u64_e32 vcc_lo, v[17:18], v[2:3]
	s_or_not1_b32 s26, vcc_lo, exec_lo
	s_branch .LBB2_127
.LBB2_132:                              ;   in Loop: Header=BB2_128 Depth=3
	s_cbranch_execnz .LBB2_380
; %bb.133:                              ;   in Loop: Header=BB2_128 Depth=3
	ds_load_b64 v[17:18], v0
	s_and_not1_b32 s25, s25, exec_lo
	s_mov_b32 s24, 0
	s_mov_b32 s26, -1
	s_waitcnt lgkmcnt(0)
	flat_load_b32 v17, v[17:18] glc
	s_waitcnt vmcnt(0) lgkmcnt(0)
	buffer_gl1_inv
	buffer_gl0_inv
	v_cmp_eq_u32_e32 vcc_lo, 0, v17
	s_and_b32 s27, vcc_lo, exec_lo
	s_delay_alu instid0(SALU_CYCLE_1)
	s_or_b32 s25, s25, s27
	s_branch .LBB2_129
.LBB2_134:                              ;   in Loop: Header=BB2_101 Depth=2
	s_or_b32 exec_lo, exec_lo, s21
	s_and_saveexec_b32 s21, s22
	s_delay_alu instid0(SALU_CYCLE_1)
	s_xor_b32 s21, exec_lo, s21
	s_cbranch_execz .LBB2_136
; %bb.135:                              ;   in Loop: Header=BB2_101 Depth=2
	ds_store_b32 v0, v144
	s_cbranch_execnz .LBB2_401
.LBB2_136:                              ;   in Loop: Header=BB2_101 Depth=2
	s_or_b32 exec_lo, exec_lo, s20
	;;#ASMSTART
	s_wakeup
	;;#ASMEND
.LBB2_137:                              ;   in Loop: Header=BB2_101 Depth=2
	s_or_b32 exec_lo, exec_lo, s19
.LBB2_138:                              ;   in Loop: Header=BB2_101 Depth=2
	s_and_not1_saveexec_b32 s10, s10
	s_cbranch_execz .LBB2_140
; %bb.139:                              ;   in Loop: Header=BB2_101 Depth=2
	s_waitcnt vmcnt(0) lgkmcnt(0)
	s_waitcnt_vscnt null, 0x0
	buffer_gl1_inv
	buffer_gl0_inv
	s_barrier
.LBB2_140:                              ;   in Loop: Header=BB2_101 Depth=2
	s_or_b32 exec_lo, exec_lo, s10
.LBB2_141:                              ;   in Loop: Header=BB2_101 Depth=2
	s_delay_alu instid0(SALU_CYCLE_1)
	s_or_b32 exec_lo, exec_lo, s9
	v_mov_b32_e32 v102, v4
	s_and_saveexec_b32 s19, s8
	s_cbranch_execz .LBB2_195
; %bb.142:                              ;   in Loop: Header=BB2_101 Depth=2
	s_waitcnt vmcnt(0) lgkmcnt(0)
	v_ashrrev_i32_e32 v20, 31, v19
	v_mul_lo_u32 v22, v67, v19
	v_mad_u64_u32 v[17:18], null, v66, v19, 0
	v_dual_mov_b32 v102, v100 :: v_dual_and_b32 v19, 7, v32
	s_delay_alu instid0(VALU_DEP_4) | instskip(SKIP_1) | instid1(VALU_DEP_3)
	v_mul_lo_u32 v20, v66, v20
	v_dual_mov_b32 v166, v146 :: v_dual_and_b32 v21, 7, v100
	v_mul_lo_u32 v19, v19, s13
	v_add_nc_u32_e32 v54, 1, v32
	s_mov_b32 s20, 0
	s_delay_alu instid0(VALU_DEP_3) | instskip(SKIP_1) | instid1(VALU_DEP_4)
	v_mul_lo_u32 v21, v21, s13
	v_add3_u32 v18, v18, v20, v22
	v_ashrrev_i32_e32 v20, 31, v19
	s_delay_alu instid0(VALU_DEP_2) | instskip(NEXT) | instid1(VALU_DEP_4)
	v_lshlrev_b64 v[17:18], 1, v[17:18]
	v_ashrrev_i32_e32 v22, 31, v21
	s_delay_alu instid0(VALU_DEP_3) | instskip(NEXT) | instid1(VALU_DEP_2)
	v_lshlrev_b64 v[19:20], 4, v[19:20]
	v_lshlrev_b64 v[21:22], 4, v[21:22]
	s_delay_alu instid0(VALU_DEP_4) | instskip(SKIP_1) | instid1(VALU_DEP_4)
	v_add_co_u32 v151, vcc_lo, v148, v17
	v_add_co_ci_u32_e32 v160, vcc_lo, v149, v18, vcc_lo
	v_add_co_u32 v161, vcc_lo, v29, v19
	v_add_co_ci_u32_e32 v162, vcc_lo, v30, v20, vcc_lo
	;; [unrolled: 2-line block ×4, first 2 shown]
	v_mov_b32_e32 v102, v4
	s_branch .LBB2_144
.LBB2_143:                              ;   in Loop: Header=BB2_144 Depth=3
	s_or_b32 exec_lo, exec_lo, s9
	v_add_co_u32 v151, vcc_lo, v151, v86
	v_sub_nc_u32_e32 v166, v166, v80
	v_add_co_ci_u32_e32 v160, vcc_lo, v160, v87, vcc_lo
	v_and_b32_e32 v19, 0xffff0000, v19
	v_lshrrev_b32_e32 v17, 16, v17
	v_lshrrev_b32_e32 v103, 16, v22
	v_and_b32_e32 v20, 0xffff0000, v20
	v_add_co_u32 v21, vcc_lo, v163, v112
	v_add_co_ci_u32_e32 v22, vcc_lo, v164, v113, vcc_lo
	v_cmp_gt_i32_e32 vcc_lo, 1, v166
	v_or3_b32 v17, v19, v17, v165
	v_or3_b32 v19, v20, v103, v165
	v_mov_b32_e32 v20, v18
	v_add_nc_u32_e32 v102, v102, v1
	s_or_b32 s20, vcc_lo, s20
	global_store_b128 v[21:22], v[17:20], off
	s_and_not1_b32 exec_lo, exec_lo, s20
	s_cbranch_execz .LBB2_194
.LBB2_144:                              ;   Parent Loop BB2_32 Depth=1
                                        ;     Parent Loop BB2_101 Depth=2
                                        ; =>    This Loop Header: Depth=3
                                        ;         Child Loop BB2_152 Depth 4
	v_dual_mov_b32 v20, v160 :: v_dual_and_b32 v19, -4, v151
	v_min_u32_e32 v17, 4, v166
	v_and_b32_e32 v21, 3, v151
	v_mov_b32_e32 v167, 0
	flat_load_b32 v176, v[19:20] glc
	v_lshlrev_b32_e32 v17, 1, v17
	s_delay_alu instid0(VALU_DEP_1) | instskip(NEXT) | instid1(VALU_DEP_1)
	v_add_co_u32 v21, s9, v21, v17
	v_add_co_ci_u32_e64 v22, null, 0, 0, s9
	v_mov_b32_e32 v17, 0
	s_mov_b32 s9, exec_lo
	s_delay_alu instid0(VALU_DEP_2)
	v_cmpx_lt_u64_e32 4, v[21:22]
	s_cbranch_execz .LBB2_146
; %bb.145:                              ;   in Loop: Header=BB2_144 Depth=3
	flat_load_b32 v167, v[19:20] offset:4 glc
.LBB2_146:                              ;   in Loop: Header=BB2_144 Depth=3
	s_or_b32 exec_lo, exec_lo, s9
	s_delay_alu instid0(SALU_CYCLE_1)
	s_mov_b32 s9, exec_lo
	v_cmpx_lt_u64_e32 8, v[21:22]
	s_cbranch_execz .LBB2_148
; %bb.147:                              ;   in Loop: Header=BB2_144 Depth=3
	flat_load_b32 v17, v[19:20] offset:8 glc
.LBB2_148:                              ;   in Loop: Header=BB2_144 Depth=3
	s_or_b32 exec_lo, exec_lo, s9
	v_ashrrev_i32_e32 v103, 31, v102
	s_delay_alu instid0(VALU_DEP_1) | instskip(NEXT) | instid1(VALU_DEP_1)
	v_lshlrev_b64 v[112:113], 4, v[102:103]
	v_add_co_u32 v114, vcc_lo, v161, v112
	s_delay_alu instid0(VALU_DEP_2)
	v_add_co_ci_u32_e32 v115, vcc_lo, v162, v113, vcc_lo
	v_cmp_eq_u32_e32 vcc_lo, 0, v145
	;;#ASMSTART
	global_load_b128 v[19:22], v[114:115], off glc slc dlc
s_waitcnt vmcnt(0)

	;;#ASMEND
	s_and_saveexec_b32 s21, vcc_lo
	s_cbranch_execz .LBB2_162
; %bb.149:                              ;   in Loop: Header=BB2_144 Depth=3
	v_cmp_ne_u32_e64 s9, v54, v20
	v_cmp_ne_u32_e64 s10, v54, v22
	v_mov_b32_e32 v145, 0
	s_delay_alu instid0(VALU_DEP_2) | instskip(NEXT) | instid1(SALU_CYCLE_1)
	s_or_b32 s9, s9, s10
	s_and_saveexec_b32 s10, s9
	s_cbranch_execz .LBB2_161
; %bb.150:                              ;   in Loop: Header=BB2_144 Depth=3
	v_cndmask_b32_e64 v103, 0, 1, vcc_lo
	s_mov_b32 s22, 0
                                        ; implicit-def: $sgpr23
                                        ; implicit-def: $sgpr24
	s_branch .LBB2_152
.LBB2_151:                              ;   in Loop: Header=BB2_152 Depth=4
	s_or_b32 exec_lo, exec_lo, s25
	s_delay_alu instid0(SALU_CYCLE_1) | instskip(NEXT) | instid1(SALU_CYCLE_1)
	s_and_b32 s9, exec_lo, s9
	s_or_b32 s22, s9, s22
	s_and_not1_b32 s9, s23, exec_lo
	s_and_b32 s23, s24, exec_lo
	s_delay_alu instid0(SALU_CYCLE_1)
	s_or_b32 s23, s9, s23
	s_and_not1_b32 exec_lo, exec_lo, s22
	s_cbranch_execz .LBB2_160
.LBB2_152:                              ;   Parent Loop BB2_32 Depth=1
                                        ;     Parent Loop BB2_101 Depth=2
                                        ;       Parent Loop BB2_144 Depth=3
                                        ; =>      This Inner Loop Header: Depth=4
	s_delay_alu instid0(VALU_DEP_1)
	v_add_nc_u32_e32 v103, 1, v103
	v_mov_b32_e32 v145, 0
	s_mov_b32 s9, -1
	s_mov_b32 s26, -1
	s_mov_b32 s25, exec_lo
	;;#ASMSTART
	global_load_b128 v[19:22], v[114:115], off glc slc dlc
s_waitcnt vmcnt(0)

	;;#ASMEND
	v_cmpx_eq_u32_e32 0x2710, v103
	s_cbranch_execz .LBB2_158
; %bb.153:                              ;   in Loop: Header=BB2_152 Depth=4
	s_cbranch_execnz .LBB2_327
; %bb.154:                              ;   in Loop: Header=BB2_152 Depth=4
	ds_load_b64 v[177:178], v0
	v_mov_b32_e32 v103, 0
	v_mov_b32_e32 v145, 0
	s_mov_b32 s27, -1
	s_mov_b32 s26, exec_lo
	s_waitcnt vmcnt(0) lgkmcnt(0)
	s_waitcnt_vscnt null, 0x0
	flat_load_b32 v177, v[177:178] glc
	s_waitcnt vmcnt(0) lgkmcnt(0)
	buffer_gl1_inv
	buffer_gl0_inv
	v_cmpx_ne_u32_e32 0, v177
	s_cbranch_execz .LBB2_157
; %bb.155:                              ;   in Loop: Header=BB2_152 Depth=4
	ds_store_b32 v0, v177
	s_cbranch_execnz .LBB2_335
; %bb.156:                              ;   in Loop: Header=BB2_152 Depth=4
	v_mov_b32_e32 v145, 1
	s_xor_b32 s27, exec_lo, -1
.LBB2_157:                              ;   in Loop: Header=BB2_152 Depth=4
	s_or_b32 exec_lo, exec_lo, s26
	s_delay_alu instid0(SALU_CYCLE_1)
	s_or_not1_b32 s26, s27, exec_lo
.LBB2_158:                              ;   in Loop: Header=BB2_152 Depth=4
	s_or_b32 exec_lo, exec_lo, s25
	s_delay_alu instid0(SALU_CYCLE_1)
	s_or_b32 s24, s24, exec_lo
	s_and_saveexec_b32 s25, s26
	s_cbranch_execz .LBB2_151
; %bb.159:                              ;   in Loop: Header=BB2_152 Depth=4
	v_cmp_eq_u32_e32 vcc_lo, v54, v20
	v_cmp_eq_u32_e64 s9, v54, v22
	s_and_not1_b32 s24, s24, exec_lo
	s_delay_alu instid0(VALU_DEP_1) | instskip(NEXT) | instid1(SALU_CYCLE_1)
	s_and_b32 s9, vcc_lo, s9
	s_or_not1_b32 s9, s9, exec_lo
	s_branch .LBB2_151
.LBB2_160:                              ;   in Loop: Header=BB2_144 Depth=3
	s_or_b32 exec_lo, exec_lo, s22
	s_xor_b32 s9, s23, -1
	s_delay_alu instid0(SALU_CYCLE_1) | instskip(NEXT) | instid1(SALU_CYCLE_1)
	s_and_saveexec_b32 s22, s9
	s_xor_b32 s9, exec_lo, s22
	s_delay_alu instid0(SALU_CYCLE_1) | instskip(NEXT) | instid1(SALU_CYCLE_1)
	s_and_not1_saveexec_b32 s9, s9
	s_or_b32 exec_lo, exec_lo, s9
.LBB2_161:                              ;   in Loop: Header=BB2_144 Depth=3
	s_delay_alu instid0(SALU_CYCLE_1)
	s_or_b32 exec_lo, exec_lo, s10
.LBB2_162:                              ;   in Loop: Header=BB2_144 Depth=3
	s_delay_alu instid0(SALU_CYCLE_1) | instskip(SKIP_2) | instid1(VALU_DEP_1)
	s_or_b32 exec_lo, exec_lo, s21
	v_lshlrev_b32_e32 v20, 3, v151
	s_waitcnt vmcnt(0) lgkmcnt(0)
	v_alignbit_b32 v22, v167, v176, v20
	s_delay_alu instid0(VALU_DEP_1) | instskip(NEXT) | instid1(VALU_DEP_1)
	v_lshlrev_b32_e32 v103, 16, v22
	v_mul_f32_e32 v103, v117, v103
	s_delay_alu instid0(VALU_DEP_1) | instskip(NEXT) | instid1(VALU_DEP_1)
	v_and_b32_e32 v114, 0x7f800000, v103
	v_cmp_ne_u32_e32 vcc_lo, 0x7f800000, v114
                                        ; implicit-def: $vgpr114
	s_and_saveexec_b32 s9, vcc_lo
	s_delay_alu instid0(SALU_CYCLE_1)
	s_xor_b32 s9, exec_lo, s9
; %bb.163:                              ;   in Loop: Header=BB2_144 Depth=3
	v_bfe_u32 v114, v103, 16, 1
	s_delay_alu instid0(VALU_DEP_1)
	v_add3_u32 v114, v103, v114, 0x7fff
                                        ; implicit-def: $vgpr103
; %bb.164:                              ;   in Loop: Header=BB2_144 Depth=3
	s_and_not1_saveexec_b32 s9, s9
; %bb.165:                              ;   in Loop: Header=BB2_144 Depth=3
	v_and_b32_e32 v114, 0xffff, v103
	v_or_b32_e32 v115, 0x10000, v103
	s_delay_alu instid0(VALU_DEP_2) | instskip(NEXT) | instid1(VALU_DEP_2)
	v_cmp_eq_u32_e32 vcc_lo, 0, v114
	v_cndmask_b32_e32 v114, v115, v103, vcc_lo
; %bb.166:                              ;   in Loop: Header=BB2_144 Depth=3
	s_or_b32 exec_lo, exec_lo, s9
	v_and_b32_e32 v22, 0xffff0000, v22
	s_delay_alu instid0(VALU_DEP_1) | instskip(NEXT) | instid1(VALU_DEP_1)
	v_mul_f32_e32 v103, v117, v22
	v_and_b32_e32 v22, 0x7f800000, v103
	s_delay_alu instid0(VALU_DEP_1) | instskip(SKIP_1) | instid1(SALU_CYCLE_1)
	v_cmp_ne_u32_e32 vcc_lo, 0x7f800000, v22
                                        ; implicit-def: $vgpr22
	s_and_saveexec_b32 s9, vcc_lo
	s_xor_b32 s9, exec_lo, s9
; %bb.167:                              ;   in Loop: Header=BB2_144 Depth=3
	v_bfe_u32 v22, v103, 16, 1
	s_delay_alu instid0(VALU_DEP_1)
	v_add3_u32 v22, v103, v22, 0x7fff
                                        ; implicit-def: $vgpr103
; %bb.168:                              ;   in Loop: Header=BB2_144 Depth=3
	s_and_not1_saveexec_b32 s9, s9
; %bb.169:                              ;   in Loop: Header=BB2_144 Depth=3
	v_and_b32_e32 v22, 0xffff, v103
	v_or_b32_e32 v115, 0x10000, v103
	s_delay_alu instid0(VALU_DEP_2) | instskip(NEXT) | instid1(VALU_DEP_2)
	v_cmp_eq_u32_e32 vcc_lo, 0, v22
	v_cndmask_b32_e32 v22, v115, v103, vcc_lo
; %bb.170:                              ;   in Loop: Header=BB2_144 Depth=3
	s_or_b32 exec_lo, exec_lo, s9
	v_alignbit_b32 v17, v17, v167, v20
	s_delay_alu instid0(VALU_DEP_1) | instskip(NEXT) | instid1(VALU_DEP_1)
	v_lshlrev_b32_e32 v20, 16, v17
	v_mul_f32_e32 v20, v117, v20
	s_delay_alu instid0(VALU_DEP_1) | instskip(NEXT) | instid1(VALU_DEP_1)
	v_and_b32_e32 v103, 0x7f800000, v20
	v_cmp_ne_u32_e32 vcc_lo, 0x7f800000, v103
                                        ; implicit-def: $vgpr103
	s_and_saveexec_b32 s9, vcc_lo
	s_delay_alu instid0(SALU_CYCLE_1)
	s_xor_b32 s9, exec_lo, s9
; %bb.171:                              ;   in Loop: Header=BB2_144 Depth=3
	v_bfe_u32 v103, v20, 16, 1
	s_delay_alu instid0(VALU_DEP_1)
	v_add3_u32 v103, v20, v103, 0x7fff
                                        ; implicit-def: $vgpr20
; %bb.172:                              ;   in Loop: Header=BB2_144 Depth=3
	s_and_not1_saveexec_b32 s9, s9
; %bb.173:                              ;   in Loop: Header=BB2_144 Depth=3
	v_and_b32_e32 v103, 0xffff, v20
	v_or_b32_e32 v115, 0x10000, v20
	s_delay_alu instid0(VALU_DEP_2) | instskip(NEXT) | instid1(VALU_DEP_2)
	v_cmp_eq_u32_e32 vcc_lo, 0, v103
	v_cndmask_b32_e32 v103, v115, v20, vcc_lo
; %bb.174:                              ;   in Loop: Header=BB2_144 Depth=3
	s_or_b32 exec_lo, exec_lo, s9
	v_and_b32_e32 v17, 0xffff0000, v17
	s_delay_alu instid0(VALU_DEP_1) | instskip(NEXT) | instid1(VALU_DEP_1)
	v_mul_f32_e32 v17, v117, v17
	v_and_b32_e32 v20, 0x7f800000, v17
	s_delay_alu instid0(VALU_DEP_1) | instskip(SKIP_1) | instid1(SALU_CYCLE_1)
	v_cmp_ne_u32_e32 vcc_lo, 0x7f800000, v20
                                        ; implicit-def: $vgpr20
	s_and_saveexec_b32 s9, vcc_lo
	s_xor_b32 s9, exec_lo, s9
; %bb.175:                              ;   in Loop: Header=BB2_144 Depth=3
	v_bfe_u32 v20, v17, 16, 1
	s_delay_alu instid0(VALU_DEP_1)
	v_add3_u32 v20, v17, v20, 0x7fff
                                        ; implicit-def: $vgpr17
; %bb.176:                              ;   in Loop: Header=BB2_144 Depth=3
	s_and_not1_saveexec_b32 s9, s9
; %bb.177:                              ;   in Loop: Header=BB2_144 Depth=3
	v_and_b32_e32 v20, 0xffff, v17
	v_or_b32_e32 v115, 0x10000, v17
	s_delay_alu instid0(VALU_DEP_2) | instskip(NEXT) | instid1(VALU_DEP_2)
	v_cmp_eq_u32_e32 vcc_lo, 0, v20
	v_cndmask_b32_e32 v20, v115, v17, vcc_lo
; %bb.178:                              ;   in Loop: Header=BB2_144 Depth=3
	s_or_b32 exec_lo, exec_lo, s9
	v_and_b32_e32 v17, 0xffff0000, v114
	v_lshlrev_b32_e32 v114, 16, v19
	s_delay_alu instid0(VALU_DEP_1) | instskip(NEXT) | instid1(VALU_DEP_1)
	v_add_f32_e32 v114, v114, v17
	v_and_b32_e32 v17, 0x7f800000, v114
	s_delay_alu instid0(VALU_DEP_1) | instskip(SKIP_1) | instid1(SALU_CYCLE_1)
	v_cmp_ne_u32_e32 vcc_lo, 0x7f800000, v17
                                        ; implicit-def: $vgpr17
	s_and_saveexec_b32 s9, vcc_lo
	s_xor_b32 s9, exec_lo, s9
; %bb.179:                              ;   in Loop: Header=BB2_144 Depth=3
	v_bfe_u32 v17, v114, 16, 1
	s_delay_alu instid0(VALU_DEP_1)
	v_add3_u32 v17, v114, v17, 0x7fff
                                        ; implicit-def: $vgpr114
; %bb.180:                              ;   in Loop: Header=BB2_144 Depth=3
	s_and_not1_saveexec_b32 s9, s9
; %bb.181:                              ;   in Loop: Header=BB2_144 Depth=3
	v_and_b32_e32 v17, 0xffff, v114
	v_or_b32_e32 v115, 0x10000, v114
	s_delay_alu instid0(VALU_DEP_2) | instskip(NEXT) | instid1(VALU_DEP_2)
	v_cmp_eq_u32_e32 vcc_lo, 0, v17
	v_cndmask_b32_e32 v17, v115, v114, vcc_lo
; %bb.182:                              ;   in Loop: Header=BB2_144 Depth=3
	s_or_b32 exec_lo, exec_lo, s9
	v_and_b32_e32 v22, 0xffff0000, v22
	v_and_b32_e32 v19, 0xffff0000, v19
	s_delay_alu instid0(VALU_DEP_1) | instskip(NEXT) | instid1(VALU_DEP_1)
	v_add_f32_e32 v22, v19, v22
	v_and_b32_e32 v19, 0x7f800000, v22
	s_delay_alu instid0(VALU_DEP_1) | instskip(SKIP_1) | instid1(SALU_CYCLE_1)
	v_cmp_ne_u32_e32 vcc_lo, 0x7f800000, v19
                                        ; implicit-def: $vgpr19
	s_and_saveexec_b32 s9, vcc_lo
	s_xor_b32 s9, exec_lo, s9
; %bb.183:                              ;   in Loop: Header=BB2_144 Depth=3
	v_bfe_u32 v19, v22, 16, 1
	s_delay_alu instid0(VALU_DEP_1)
	v_add3_u32 v19, v22, v19, 0x7fff
                                        ; implicit-def: $vgpr22
; %bb.184:                              ;   in Loop: Header=BB2_144 Depth=3
	s_and_not1_saveexec_b32 s9, s9
; %bb.185:                              ;   in Loop: Header=BB2_144 Depth=3
	v_and_b32_e32 v19, 0xffff, v22
	v_or_b32_e32 v114, 0x10000, v22
	s_delay_alu instid0(VALU_DEP_2) | instskip(NEXT) | instid1(VALU_DEP_2)
	v_cmp_eq_u32_e32 vcc_lo, 0, v19
	v_cndmask_b32_e32 v19, v114, v22, vcc_lo
; %bb.186:                              ;   in Loop: Header=BB2_144 Depth=3
	s_or_b32 exec_lo, exec_lo, s9
	v_and_b32_e32 v22, 0xffff0000, v103
	v_lshlrev_b32_e32 v103, 16, v21
	s_delay_alu instid0(VALU_DEP_1) | instskip(NEXT) | instid1(VALU_DEP_1)
	v_add_f32_e32 v103, v103, v22
	v_and_b32_e32 v22, 0x7f800000, v103
	s_delay_alu instid0(VALU_DEP_1) | instskip(SKIP_1) | instid1(SALU_CYCLE_1)
	v_cmp_ne_u32_e32 vcc_lo, 0x7f800000, v22
                                        ; implicit-def: $vgpr22
	s_and_saveexec_b32 s9, vcc_lo
	s_xor_b32 s9, exec_lo, s9
; %bb.187:                              ;   in Loop: Header=BB2_144 Depth=3
	v_bfe_u32 v22, v103, 16, 1
	s_delay_alu instid0(VALU_DEP_1)
	v_add3_u32 v22, v103, v22, 0x7fff
                                        ; implicit-def: $vgpr103
; %bb.188:                              ;   in Loop: Header=BB2_144 Depth=3
	s_and_not1_saveexec_b32 s9, s9
; %bb.189:                              ;   in Loop: Header=BB2_144 Depth=3
	v_and_b32_e32 v22, 0xffff, v103
	v_or_b32_e32 v114, 0x10000, v103
	s_delay_alu instid0(VALU_DEP_2) | instskip(NEXT) | instid1(VALU_DEP_2)
	v_cmp_eq_u32_e32 vcc_lo, 0, v22
	v_cndmask_b32_e32 v22, v114, v103, vcc_lo
; %bb.190:                              ;   in Loop: Header=BB2_144 Depth=3
	s_or_b32 exec_lo, exec_lo, s9
	v_and_b32_e32 v21, 0xffff0000, v21
	v_and_b32_e32 v20, 0xffff0000, v20
	s_delay_alu instid0(VALU_DEP_1) | instskip(NEXT) | instid1(VALU_DEP_1)
	v_add_f32_e32 v21, v21, v20
	v_and_b32_e32 v20, 0x7f800000, v21
	s_delay_alu instid0(VALU_DEP_1) | instskip(SKIP_1) | instid1(SALU_CYCLE_1)
	v_cmp_ne_u32_e32 vcc_lo, 0x7f800000, v20
                                        ; implicit-def: $vgpr20
	s_and_saveexec_b32 s9, vcc_lo
	s_xor_b32 s9, exec_lo, s9
; %bb.191:                              ;   in Loop: Header=BB2_144 Depth=3
	v_bfe_u32 v20, v21, 16, 1
	s_delay_alu instid0(VALU_DEP_1)
	v_add3_u32 v20, v21, v20, 0x7fff
                                        ; implicit-def: $vgpr21
; %bb.192:                              ;   in Loop: Header=BB2_144 Depth=3
	s_and_not1_saveexec_b32 s9, s9
	s_cbranch_execz .LBB2_143
; %bb.193:                              ;   in Loop: Header=BB2_144 Depth=3
	v_and_b32_e32 v20, 0xffff, v21
	v_or_b32_e32 v103, 0x10000, v21
	s_delay_alu instid0(VALU_DEP_2) | instskip(NEXT) | instid1(VALU_DEP_2)
	v_cmp_eq_u32_e32 vcc_lo, 0, v20
	v_cndmask_b32_e32 v20, v103, v21, vcc_lo
	s_branch .LBB2_143
.LBB2_194:                              ;   in Loop: Header=BB2_101 Depth=2
	s_or_b32 exec_lo, exec_lo, s20
.LBB2_195:                              ;   in Loop: Header=BB2_101 Depth=2
	s_delay_alu instid0(SALU_CYCLE_1)
	s_or_b32 exec_lo, exec_lo, s19
	s_and_saveexec_b32 s9, s3
	s_cbranch_execz .LBB2_217
; %bb.196:                              ;   in Loop: Header=BB2_101 Depth=2
	s_and_saveexec_b32 s10, s4
	s_delay_alu instid0(SALU_CYCLE_1)
	s_xor_b32 s10, exec_lo, s10
	s_cbranch_execz .LBB2_214
; %bb.197:                              ;   in Loop: Header=BB2_101 Depth=2
	s_and_saveexec_b32 s19, s5
	s_cbranch_execz .LBB2_213
; %bb.198:                              ;   in Loop: Header=BB2_101 Depth=2
	s_mov_b32 s21, exec_lo
	s_mov_b32 s20, exec_lo
	v_mbcnt_lo_u32_b32 v17, s21, 0
	s_waitcnt vmcnt(0) lgkmcnt(0)
	s_waitcnt_vscnt null, 0x0
	buffer_gl1_inv
	buffer_gl0_inv
	v_cmpx_eq_u32_e32 0, v17
	s_cbranch_execz .LBB2_200
; %bb.199:                              ;   in Loop: Header=BB2_101 Depth=2
	s_bcnt1_i32_b32 s21, s21
	s_delay_alu instid0(SALU_CYCLE_1)
	v_mov_b32_e32 v54, s21
	ds_add_u64 v0, v[54:55]
	s_cbranch_execnz .LBB2_370
.LBB2_200:                              ;   in Loop: Header=BB2_101 Depth=2
	s_or_b32 exec_lo, exec_lo, s20
	s_cbranch_execnz .LBB2_362
; %bb.201:                              ;   in Loop: Header=BB2_101 Depth=2
	ds_load_b64 v[17:18], v0
	v_add_co_u32 v2, vcc_lo, v2, v118
	v_add_co_ci_u32_e32 v3, vcc_lo, v3, v71, vcc_lo
	s_mov_b32 s20, exec_lo
	s_waitcnt lgkmcnt(0)
	s_delay_alu instid0(VALU_DEP_1)
	v_cmpx_lt_u64_e64 v[17:18], v[2:3]
	s_cbranch_execz .LBB2_212
; %bb.202:                              ;   in Loop: Header=BB2_101 Depth=2
	s_mov_b32 s21, 0
	s_mov_b32 s24, 0
                                        ; implicit-def: $sgpr22
                                        ; implicit-def: $sgpr23
	s_branch .LBB2_204
.LBB2_203:                              ;   in Loop: Header=BB2_204 Depth=3
	s_or_b32 exec_lo, exec_lo, s27
	s_delay_alu instid0(SALU_CYCLE_1) | instskip(NEXT) | instid1(SALU_CYCLE_1)
	s_and_b32 s25, exec_lo, s26
	s_or_b32 s21, s25, s21
	s_and_not1_b32 s22, s22, exec_lo
	s_and_b32 s25, s23, exec_lo
	s_delay_alu instid0(SALU_CYCLE_1)
	s_or_b32 s22, s22, s25
	s_and_not1_b32 exec_lo, exec_lo, s21
	s_cbranch_execz .LBB2_210
.LBB2_204:                              ;   Parent Loop BB2_32 Depth=1
                                        ;     Parent Loop BB2_101 Depth=2
                                        ; =>    This Inner Loop Header: Depth=3
	s_add_i32 s24, s24, 1
                                        ; implicit-def: $sgpr26
	s_delay_alu instid0(SALU_CYCLE_1) | instskip(SKIP_1) | instid1(SALU_CYCLE_1)
	s_cmpk_lg_i32 s24, 0x2710
	s_cselect_b32 s25, -1, 0
	s_and_b32 vcc_lo, exec_lo, s25
	s_cbranch_vccz .LBB2_208
.LBB2_205:                              ;   in Loop: Header=BB2_204 Depth=3
	s_and_not1_b32 s23, s23, exec_lo
	s_and_b32 s27, s26, exec_lo
	s_mov_b32 s26, -1
	s_or_b32 s23, s23, s27
	s_and_saveexec_b32 s27, s25
	s_cbranch_execz .LBB2_203
; %bb.206:                              ;   in Loop: Header=BB2_204 Depth=3
	s_sleep 1
	s_cbranch_execnz .LBB2_382
; %bb.207:                              ;   in Loop: Header=BB2_204 Depth=3
	ds_load_b64 v[17:18], v0
	s_and_not1_b32 s23, s23, exec_lo
	s_waitcnt lgkmcnt(0)
	v_cmp_ge_u64_e32 vcc_lo, v[17:18], v[2:3]
	s_or_not1_b32 s26, vcc_lo, exec_lo
	s_branch .LBB2_203
.LBB2_208:                              ;   in Loop: Header=BB2_204 Depth=3
	s_cbranch_execnz .LBB2_384
; %bb.209:                              ;   in Loop: Header=BB2_204 Depth=3
	ds_load_b64 v[17:18], v0
	s_and_not1_b32 s25, s25, exec_lo
	s_mov_b32 s24, 0
	s_mov_b32 s26, -1
	s_waitcnt lgkmcnt(0)
	flat_load_b32 v17, v[17:18] glc
	s_waitcnt vmcnt(0) lgkmcnt(0)
	buffer_gl1_inv
	buffer_gl0_inv
	v_cmp_eq_u32_e32 vcc_lo, 0, v17
	s_and_b32 s27, vcc_lo, exec_lo
	s_delay_alu instid0(SALU_CYCLE_1)
	s_or_b32 s25, s25, s27
	s_branch .LBB2_205
.LBB2_210:                              ;   in Loop: Header=BB2_101 Depth=2
	s_or_b32 exec_lo, exec_lo, s21
	s_and_saveexec_b32 s21, s22
	s_delay_alu instid0(SALU_CYCLE_1)
	s_xor_b32 s21, exec_lo, s21
	s_cbranch_execz .LBB2_212
; %bb.211:                              ;   in Loop: Header=BB2_101 Depth=2
	ds_store_b32 v0, v144
	s_cbranch_execnz .LBB2_403
.LBB2_212:                              ;   in Loop: Header=BB2_101 Depth=2
	s_or_b32 exec_lo, exec_lo, s20
	;;#ASMSTART
	s_wakeup
	;;#ASMEND
.LBB2_213:                              ;   in Loop: Header=BB2_101 Depth=2
	s_or_b32 exec_lo, exec_lo, s19
.LBB2_214:                              ;   in Loop: Header=BB2_101 Depth=2
	s_and_not1_saveexec_b32 s10, s10
	s_cbranch_execz .LBB2_216
; %bb.215:                              ;   in Loop: Header=BB2_101 Depth=2
	s_waitcnt vmcnt(0) lgkmcnt(0)
	s_waitcnt_vscnt null, 0x0
	buffer_gl1_inv
	buffer_gl0_inv
	s_barrier
.LBB2_216:                              ;   in Loop: Header=BB2_101 Depth=2
	s_or_b32 exec_lo, exec_lo, s10
.LBB2_217:                              ;   in Loop: Header=BB2_101 Depth=2
	s_delay_alu instid0(SALU_CYCLE_1)
	s_or_b32 exec_lo, exec_lo, s9
	s_and_saveexec_b32 s9, s6
	s_cbranch_execz .LBB2_219
; %bb.218:                              ;   in Loop: Header=BB2_101 Depth=2
	v_add_co_u32 v48, vcc_lo, v48, 1
	v_add_co_ci_u32_e32 v49, vcc_lo, 0, v49, vcc_lo
	s_waitcnt vmcnt(0) lgkmcnt(0)
	s_waitcnt_vscnt null, 0x0
	flat_store_b64 v[36:37], v[48:49]
.LBB2_219:                              ;   in Loop: Header=BB2_101 Depth=2
	s_or_b32 exec_lo, exec_lo, s9
	v_and_b32_e32 v54, 0x7ffffff8, v100
	v_cmp_gt_i32_e64 s9, s13, v102
	s_delay_alu instid0(VALU_DEP_2) | instskip(NEXT) | instid1(VALU_DEP_2)
	v_cmp_eq_u64_e32 vcc_lo, 0x7ffffff8, v[54:55]
	s_and_b32 s9, vcc_lo, s9
	s_delay_alu instid0(SALU_CYCLE_1)
	s_and_saveexec_b32 s10, s9
	s_cbranch_execz .LBB2_222
; %bb.220:                              ;   in Loop: Header=BB2_101 Depth=2
	v_and_b32_e32 v17, 7, v150
	v_ashrrev_i32_e32 v103, 31, v102
	v_mov_b32_e32 v21, v100
	s_mov_b32 s19, 0
	s_delay_alu instid0(VALU_DEP_3) | instskip(SKIP_2) | instid1(VALU_DEP_2)
	v_mul_lo_u32 v17, s13, v17
	s_waitcnt vmcnt(0) lgkmcnt(0)
	v_lshlrev_b64 v[19:20], 4, v[102:103]
	v_ashrrev_i32_e32 v18, 31, v17
	s_delay_alu instid0(VALU_DEP_1) | instskip(NEXT) | instid1(VALU_DEP_1)
	v_lshlrev_b64 v[17:18], 4, v[17:18]
	v_add_co_u32 v19, vcc_lo, v19, v17
	s_delay_alu instid0(VALU_DEP_2) | instskip(SKIP_2) | instid1(VALU_DEP_4)
	v_add_co_ci_u32_e32 v20, vcc_lo, v20, v18, vcc_lo
	v_add_co_u32 v17, vcc_lo, 0, 0
	v_add_co_ci_u32_e32 v18, vcc_lo, 1, v21, vcc_lo
	v_add_co_u32 v21, vcc_lo, v38, v19
	s_delay_alu instid0(VALU_DEP_4)
	v_add_co_ci_u32_e32 v22, vcc_lo, v39, v20, vcc_lo
.LBB2_221:                              ;   Parent Loop BB2_32 Depth=1
                                        ;     Parent Loop BB2_101 Depth=2
                                        ; =>    This Inner Loop Header: Depth=3
	s_delay_alu instid0(VALU_DEP_4) | instskip(NEXT) | instid1(VALU_DEP_4)
	v_dual_mov_b32 v19, v17 :: v_dual_add_nc_u32 v102, v102, v1
	v_mov_b32_e32 v20, v18
	s_delay_alu instid0(VALU_DEP_2) | instskip(SKIP_2) | instid1(VALU_DEP_1)
	v_cmp_le_i32_e32 vcc_lo, s13, v102
	global_store_b128 v[21:22], v[17:20], off
	v_add_co_u32 v21, s9, v21, v96
	v_add_co_ci_u32_e64 v22, s9, v22, v97, s9
	s_or_b32 s19, vcc_lo, s19
	s_delay_alu instid0(SALU_CYCLE_1)
	s_and_not1_b32 exec_lo, exec_lo, s19
	s_cbranch_execnz .LBB2_221
.LBB2_222:                              ;   in Loop: Header=BB2_101 Depth=2
	s_or_b32 exec_lo, exec_lo, s10
	v_add_co_u32 v32, vcc_lo, v32, 1
	v_add_co_ci_u32_e32 v33, vcc_lo, 0, v33, vcc_lo
	v_add_co_u32 v100, vcc_lo, v100, 1
	v_add_co_ci_u32_e32 v101, vcc_lo, 0, v101, vcc_lo
	v_add_nc_u16 v150, v150, 1
	s_add_i32 s18, s18, 1
	s_delay_alu instid0(SALU_CYCLE_1)
	s_cmp_eq_u32 s18, s14
	s_cbranch_scc0 .LBB2_101
.LBB2_223:                              ;   in Loop: Header=BB2_32 Depth=1
	s_delay_alu instid0(VALU_DEP_1)
	v_dual_mov_b32 v21, v100 :: v_dual_mov_b32 v22, v101
	s_and_saveexec_b32 s10, s8
	s_cbranch_execz .LBB2_287
; %bb.224:                              ;   in Loop: Header=BB2_32 Depth=1
	s_waitcnt vmcnt(0) lgkmcnt(0)
	flat_load_b32 v19, v[23:24]
	v_and_b32_e32 v54, 7, v32
	s_mov_b32 s18, 0
	s_delay_alu instid0(VALU_DEP_1)
	v_mul_lo_u32 v100, v54, s13
	v_add_nc_u32_e32 v54, 1, v32
	s_waitcnt vmcnt(0) lgkmcnt(0)
	v_ashrrev_i32_e32 v20, 31, v19
	v_mul_lo_u32 v101, v67, v19
	v_mad_u64_u32 v[17:18], null, v66, v19, 0
	s_delay_alu instid0(VALU_DEP_3) | instskip(SKIP_1) | instid1(VALU_DEP_2)
	v_mul_lo_u32 v102, v66, v20
	v_lshlrev_b64 v[19:20], 1, v[98:99]
	v_add3_u32 v18, v18, v102, v101
	s_delay_alu instid0(VALU_DEP_2) | instskip(SKIP_1) | instid1(VALU_DEP_4)
	v_add_co_u32 v102, vcc_lo, v11, v19
	v_ashrrev_i32_e32 v101, 31, v100
	v_add_co_ci_u32_e32 v103, vcc_lo, v12, v20, vcc_lo
	s_delay_alu instid0(VALU_DEP_4) | instskip(SKIP_3) | instid1(VALU_DEP_4)
	v_lshlrev_b64 v[17:18], 1, v[17:18]
	v_add_co_u32 v98, vcc_lo, v129, v19
	v_add_co_ci_u32_e32 v99, vcc_lo, v130, v20, vcc_lo
	v_lshlrev_b64 v[19:20], 4, v[100:101]
	v_add_co_u32 v17, vcc_lo, v102, v17
	v_add_co_ci_u32_e32 v18, vcc_lo, v103, v18, vcc_lo
	v_mov_b32_e32 v100, v4
	s_delay_alu instid0(VALU_DEP_4)
	v_add_co_u32 v103, vcc_lo, v29, v19
	v_add_co_ci_u32_e32 v112, vcc_lo, v30, v20, vcc_lo
	v_add_co_u32 v113, vcc_lo, v17, v82
	v_add_co_ci_u32_e32 v114, vcc_lo, v18, v83, vcc_lo
	s_branch .LBB2_226
.LBB2_225:                              ;   in Loop: Header=BB2_226 Depth=2
	v_sub_nc_u32_e32 v146, v146, v80
	v_add_co_u32 v113, vcc_lo, v113, v86
	v_add_co_ci_u32_e32 v114, vcc_lo, v114, v87, vcc_lo
	s_delay_alu instid0(VALU_DEP_3) | instskip(SKIP_1) | instid1(VALU_DEP_1)
	v_cmp_gt_i32_e32 vcc_lo, 1, v146
	v_add_co_u32 v98, s8, v98, v86
	v_add_co_ci_u32_e64 v99, s8, v99, v87, s8
	v_add_nc_u32_e32 v100, v100, v1
	s_or_b32 s18, vcc_lo, s18
	s_delay_alu instid0(SALU_CYCLE_1)
	s_and_not1_b32 exec_lo, exec_lo, s18
	s_cbranch_execz .LBB2_286
.LBB2_226:                              ;   Parent Loop BB2_32 Depth=1
                                        ; =>  This Loop Header: Depth=2
                                        ;       Child Loop BB2_234 Depth 3
	s_delay_alu instid0(VALU_DEP_1)
	v_dual_mov_b32 v18, v114 :: v_dual_and_b32 v17, -4, v113
	v_min_u32_e32 v19, 4, v146
	v_dual_mov_b32 v115, 0 :: v_dual_and_b32 v20, 3, v113
	v_mov_b32_e32 v147, 0
	flat_load_b32 v148, v[17:18] glc
	v_lshlrev_b32_e32 v19, 1, v19
	s_delay_alu instid0(VALU_DEP_1) | instskip(NEXT) | instid1(VALU_DEP_1)
	v_add_co_u32 v19, s8, v20, v19
	v_add_co_ci_u32_e64 v20, null, 0, 0, s8
	s_mov_b32 s8, exec_lo
	s_delay_alu instid0(VALU_DEP_1)
	v_cmpx_lt_u64_e32 4, v[19:20]
	s_cbranch_execz .LBB2_228
; %bb.227:                              ;   in Loop: Header=BB2_226 Depth=2
	flat_load_b32 v147, v[17:18] offset:4 glc
.LBB2_228:                              ;   in Loop: Header=BB2_226 Depth=2
	s_or_b32 exec_lo, exec_lo, s8
	s_delay_alu instid0(SALU_CYCLE_1)
	s_mov_b32 s8, exec_lo
	v_cmpx_lt_u64_e32 8, v[19:20]
	s_cbranch_execz .LBB2_230
; %bb.229:                              ;   in Loop: Header=BB2_226 Depth=2
	flat_load_b32 v115, v[17:18] offset:8 glc
.LBB2_230:                              ;   in Loop: Header=BB2_226 Depth=2
	s_or_b32 exec_lo, exec_lo, s8
	v_ashrrev_i32_e32 v101, 31, v100
	s_delay_alu instid0(VALU_DEP_1) | instskip(NEXT) | instid1(VALU_DEP_1)
	v_lshlrev_b64 v[17:18], 4, v[100:101]
	v_add_co_u32 v101, vcc_lo, v103, v17
	s_delay_alu instid0(VALU_DEP_2)
	v_add_co_ci_u32_e32 v102, vcc_lo, v112, v18, vcc_lo
	v_cmp_eq_u32_e32 vcc_lo, 0, v145
	;;#ASMSTART
	global_load_b128 v[17:20], v[101:102], off glc slc dlc
s_waitcnt vmcnt(0)

	;;#ASMEND
	s_and_saveexec_b32 s19, vcc_lo
	s_cbranch_execz .LBB2_244
; %bb.231:                              ;   in Loop: Header=BB2_226 Depth=2
	v_cmp_ne_u32_e64 s8, v54, v18
	v_cmp_ne_u32_e64 s9, v54, v20
	v_mov_b32_e32 v145, 0
	s_delay_alu instid0(VALU_DEP_2) | instskip(NEXT) | instid1(SALU_CYCLE_1)
	s_or_b32 s8, s8, s9
	s_and_saveexec_b32 s9, s8
	s_cbranch_execz .LBB2_243
; %bb.232:                              ;   in Loop: Header=BB2_226 Depth=2
	v_cndmask_b32_e64 v149, 0, 1, vcc_lo
	s_mov_b32 s20, 0
                                        ; implicit-def: $sgpr21
                                        ; implicit-def: $sgpr22
	s_branch .LBB2_234
.LBB2_233:                              ;   in Loop: Header=BB2_234 Depth=3
	s_or_b32 exec_lo, exec_lo, s23
	s_delay_alu instid0(SALU_CYCLE_1) | instskip(NEXT) | instid1(SALU_CYCLE_1)
	s_and_b32 s8, exec_lo, s8
	s_or_b32 s20, s8, s20
	s_and_not1_b32 s8, s21, exec_lo
	s_and_b32 s21, s22, exec_lo
	s_delay_alu instid0(SALU_CYCLE_1)
	s_or_b32 s21, s8, s21
	s_and_not1_b32 exec_lo, exec_lo, s20
	s_cbranch_execz .LBB2_242
.LBB2_234:                              ;   Parent Loop BB2_32 Depth=1
                                        ;     Parent Loop BB2_226 Depth=2
                                        ; =>    This Inner Loop Header: Depth=3
	s_delay_alu instid0(VALU_DEP_1)
	v_add_nc_u32_e32 v149, 1, v149
	v_mov_b32_e32 v145, 0
	s_mov_b32 s8, -1
	s_mov_b32 s24, -1
	s_mov_b32 s23, exec_lo
	;;#ASMSTART
	global_load_b128 v[17:20], v[101:102], off glc slc dlc
s_waitcnt vmcnt(0)

	;;#ASMEND
	v_cmpx_eq_u32_e32 0x2710, v149
	s_cbranch_execz .LBB2_240
; %bb.235:                              ;   in Loop: Header=BB2_234 Depth=3
	s_cbranch_execnz .LBB2_329
; %bb.236:                              ;   in Loop: Header=BB2_234 Depth=3
	ds_load_b64 v[149:150], v0
	v_mov_b32_e32 v145, 0
	s_mov_b32 s25, -1
	s_mov_b32 s24, exec_lo
	s_waitcnt vmcnt(0) lgkmcnt(0)
	s_waitcnt_vscnt null, 0x0
	flat_load_b32 v150, v[149:150] glc
	s_waitcnt vmcnt(0) lgkmcnt(0)
	buffer_gl1_inv
	buffer_gl0_inv
	v_mov_b32_e32 v149, 0
	v_cmpx_ne_u32_e32 0, v150
	s_cbranch_execz .LBB2_239
; %bb.237:                              ;   in Loop: Header=BB2_234 Depth=3
	ds_store_b32 v0, v150
	s_cbranch_execnz .LBB2_341
; %bb.238:                              ;   in Loop: Header=BB2_234 Depth=3
	v_mov_b32_e32 v145, 1
	s_xor_b32 s25, exec_lo, -1
.LBB2_239:                              ;   in Loop: Header=BB2_234 Depth=3
	s_or_b32 exec_lo, exec_lo, s24
	s_delay_alu instid0(SALU_CYCLE_1)
	s_or_not1_b32 s24, s25, exec_lo
.LBB2_240:                              ;   in Loop: Header=BB2_234 Depth=3
	s_or_b32 exec_lo, exec_lo, s23
	s_delay_alu instid0(SALU_CYCLE_1)
	s_or_b32 s22, s22, exec_lo
	s_and_saveexec_b32 s23, s24
	s_cbranch_execz .LBB2_233
; %bb.241:                              ;   in Loop: Header=BB2_234 Depth=3
	v_cmp_eq_u32_e32 vcc_lo, v54, v18
	v_cmp_eq_u32_e64 s8, v54, v20
	s_and_not1_b32 s22, s22, exec_lo
	s_delay_alu instid0(VALU_DEP_1) | instskip(NEXT) | instid1(SALU_CYCLE_1)
	s_and_b32 s8, vcc_lo, s8
	s_or_not1_b32 s8, s8, exec_lo
	s_branch .LBB2_233
.LBB2_242:                              ;   in Loop: Header=BB2_226 Depth=2
	s_or_b32 exec_lo, exec_lo, s20
	s_xor_b32 s8, s21, -1
	s_delay_alu instid0(SALU_CYCLE_1) | instskip(NEXT) | instid1(SALU_CYCLE_1)
	s_and_saveexec_b32 s20, s8
	s_xor_b32 s8, exec_lo, s20
	s_delay_alu instid0(SALU_CYCLE_1) | instskip(NEXT) | instid1(SALU_CYCLE_1)
	s_and_not1_saveexec_b32 s8, s8
	s_or_b32 exec_lo, exec_lo, s8
.LBB2_243:                              ;   in Loop: Header=BB2_226 Depth=2
	s_delay_alu instid0(SALU_CYCLE_1)
	s_or_b32 exec_lo, exec_lo, s9
.LBB2_244:                              ;   in Loop: Header=BB2_226 Depth=2
	s_delay_alu instid0(SALU_CYCLE_1) | instskip(SKIP_2) | instid1(VALU_DEP_1)
	s_or_b32 exec_lo, exec_lo, s19
	v_lshlrev_b32_e32 v20, 3, v113
	s_waitcnt vmcnt(0) lgkmcnt(0)
	v_alignbit_b32 v101, v147, v148, v20
	s_delay_alu instid0(VALU_DEP_1) | instskip(NEXT) | instid1(VALU_DEP_1)
	v_lshlrev_b32_e32 v18, 16, v101
	v_mul_f32_e32 v102, v117, v18
	s_delay_alu instid0(VALU_DEP_1) | instskip(NEXT) | instid1(VALU_DEP_1)
	v_and_b32_e32 v18, 0x7f800000, v102
	v_cmp_ne_u32_e32 vcc_lo, 0x7f800000, v18
                                        ; implicit-def: $vgpr18
	s_and_saveexec_b32 s8, vcc_lo
	s_delay_alu instid0(SALU_CYCLE_1)
	s_xor_b32 s8, exec_lo, s8
; %bb.245:                              ;   in Loop: Header=BB2_226 Depth=2
	v_bfe_u32 v18, v102, 16, 1
	s_delay_alu instid0(VALU_DEP_1)
	v_add3_u32 v18, v102, v18, 0x7fff
                                        ; implicit-def: $vgpr102
; %bb.246:                              ;   in Loop: Header=BB2_226 Depth=2
	s_and_not1_saveexec_b32 s8, s8
; %bb.247:                              ;   in Loop: Header=BB2_226 Depth=2
	v_and_b32_e32 v18, 0xffff, v102
	v_or_b32_e32 v148, 0x10000, v102
	s_delay_alu instid0(VALU_DEP_2) | instskip(NEXT) | instid1(VALU_DEP_2)
	v_cmp_eq_u32_e32 vcc_lo, 0, v18
	v_cndmask_b32_e32 v18, v148, v102, vcc_lo
; %bb.248:                              ;   in Loop: Header=BB2_226 Depth=2
	s_or_b32 exec_lo, exec_lo, s8
	v_and_b32_e32 v101, 0xffff0000, v101
	s_delay_alu instid0(VALU_DEP_1) | instskip(NEXT) | instid1(VALU_DEP_1)
	v_mul_f32_e32 v102, v117, v101
	v_and_b32_e32 v101, 0x7f800000, v102
	s_delay_alu instid0(VALU_DEP_1) | instskip(SKIP_1) | instid1(SALU_CYCLE_1)
	v_cmp_ne_u32_e32 vcc_lo, 0x7f800000, v101
                                        ; implicit-def: $vgpr101
	s_and_saveexec_b32 s8, vcc_lo
	s_xor_b32 s8, exec_lo, s8
; %bb.249:                              ;   in Loop: Header=BB2_226 Depth=2
	v_bfe_u32 v101, v102, 16, 1
	s_delay_alu instid0(VALU_DEP_1)
	v_add3_u32 v101, v102, v101, 0x7fff
                                        ; implicit-def: $vgpr102
; %bb.250:                              ;   in Loop: Header=BB2_226 Depth=2
	s_and_not1_saveexec_b32 s8, s8
; %bb.251:                              ;   in Loop: Header=BB2_226 Depth=2
	v_and_b32_e32 v101, 0xffff, v102
	v_or_b32_e32 v148, 0x10000, v102
	s_delay_alu instid0(VALU_DEP_2) | instskip(NEXT) | instid1(VALU_DEP_2)
	v_cmp_eq_u32_e32 vcc_lo, 0, v101
	v_cndmask_b32_e32 v101, v148, v102, vcc_lo
; %bb.252:                              ;   in Loop: Header=BB2_226 Depth=2
	s_or_b32 exec_lo, exec_lo, s8
	v_alignbit_b32 v20, v115, v147, v20
	s_delay_alu instid0(VALU_DEP_1) | instskip(NEXT) | instid1(VALU_DEP_1)
	v_lshlrev_b32_e32 v102, 16, v20
	v_mul_f32_e32 v115, v117, v102
	s_delay_alu instid0(VALU_DEP_1) | instskip(NEXT) | instid1(VALU_DEP_1)
	v_and_b32_e32 v102, 0x7f800000, v115
	v_cmp_ne_u32_e32 vcc_lo, 0x7f800000, v102
                                        ; implicit-def: $vgpr102
	s_and_saveexec_b32 s8, vcc_lo
	s_delay_alu instid0(SALU_CYCLE_1)
	s_xor_b32 s8, exec_lo, s8
; %bb.253:                              ;   in Loop: Header=BB2_226 Depth=2
	v_bfe_u32 v102, v115, 16, 1
	s_delay_alu instid0(VALU_DEP_1)
	v_add3_u32 v102, v115, v102, 0x7fff
                                        ; implicit-def: $vgpr115
; %bb.254:                              ;   in Loop: Header=BB2_226 Depth=2
	s_and_not1_saveexec_b32 s8, s8
; %bb.255:                              ;   in Loop: Header=BB2_226 Depth=2
	v_and_b32_e32 v102, 0xffff, v115
	v_or_b32_e32 v147, 0x10000, v115
	s_delay_alu instid0(VALU_DEP_2) | instskip(NEXT) | instid1(VALU_DEP_2)
	v_cmp_eq_u32_e32 vcc_lo, 0, v102
	v_cndmask_b32_e32 v102, v147, v115, vcc_lo
; %bb.256:                              ;   in Loop: Header=BB2_226 Depth=2
	s_or_b32 exec_lo, exec_lo, s8
	v_and_b32_e32 v20, 0xffff0000, v20
	s_delay_alu instid0(VALU_DEP_1) | instskip(NEXT) | instid1(VALU_DEP_1)
	v_mul_f32_e32 v115, v117, v20
	v_and_b32_e32 v20, 0x7f800000, v115
	s_delay_alu instid0(VALU_DEP_1) | instskip(SKIP_1) | instid1(SALU_CYCLE_1)
	v_cmp_ne_u32_e32 vcc_lo, 0x7f800000, v20
                                        ; implicit-def: $vgpr20
	s_and_saveexec_b32 s8, vcc_lo
	s_xor_b32 s8, exec_lo, s8
; %bb.257:                              ;   in Loop: Header=BB2_226 Depth=2
	v_bfe_u32 v20, v115, 16, 1
	s_delay_alu instid0(VALU_DEP_1)
	v_add3_u32 v20, v115, v20, 0x7fff
                                        ; implicit-def: $vgpr115
; %bb.258:                              ;   in Loop: Header=BB2_226 Depth=2
	s_and_not1_saveexec_b32 s8, s8
; %bb.259:                              ;   in Loop: Header=BB2_226 Depth=2
	v_and_b32_e32 v20, 0xffff, v115
	v_or_b32_e32 v147, 0x10000, v115
	s_delay_alu instid0(VALU_DEP_2) | instskip(NEXT) | instid1(VALU_DEP_2)
	v_cmp_eq_u32_e32 vcc_lo, 0, v20
	v_cndmask_b32_e32 v20, v147, v115, vcc_lo
; %bb.260:                              ;   in Loop: Header=BB2_226 Depth=2
	s_or_b32 exec_lo, exec_lo, s8
	v_and_b32_e32 v18, 0xffff0000, v18
	v_lshlrev_b32_e32 v115, 16, v17
	s_delay_alu instid0(VALU_DEP_1) | instskip(NEXT) | instid1(VALU_DEP_1)
	v_add_f32_e32 v115, v115, v18
	v_and_b32_e32 v18, 0x7f800000, v115
	s_delay_alu instid0(VALU_DEP_1) | instskip(SKIP_1) | instid1(SALU_CYCLE_1)
	v_cmp_ne_u32_e32 vcc_lo, 0x7f800000, v18
                                        ; implicit-def: $vgpr18
	s_and_saveexec_b32 s8, vcc_lo
	s_xor_b32 s8, exec_lo, s8
; %bb.261:                              ;   in Loop: Header=BB2_226 Depth=2
	v_bfe_u32 v18, v115, 16, 1
	s_delay_alu instid0(VALU_DEP_1)
	v_add3_u32 v18, v115, v18, 0x7fff
                                        ; implicit-def: $vgpr115
; %bb.262:                              ;   in Loop: Header=BB2_226 Depth=2
	s_and_not1_saveexec_b32 s8, s8
; %bb.263:                              ;   in Loop: Header=BB2_226 Depth=2
	v_and_b32_e32 v18, 0xffff, v115
	v_or_b32_e32 v147, 0x10000, v115
	s_delay_alu instid0(VALU_DEP_2) | instskip(NEXT) | instid1(VALU_DEP_2)
	v_cmp_eq_u32_e32 vcc_lo, 0, v18
	v_cndmask_b32_e32 v18, v147, v115, vcc_lo
; %bb.264:                              ;   in Loop: Header=BB2_226 Depth=2
	s_or_b32 exec_lo, exec_lo, s8
	v_and_b32_e32 v101, 0xffff0000, v101
	v_and_b32_e32 v17, 0xffff0000, v17
	s_delay_alu instid0(VALU_DEP_1) | instskip(NEXT) | instid1(VALU_DEP_1)
	v_add_f32_e32 v101, v17, v101
	v_and_b32_e32 v17, 0x7f800000, v101
	s_delay_alu instid0(VALU_DEP_1) | instskip(SKIP_1) | instid1(SALU_CYCLE_1)
	v_cmp_ne_u32_e32 vcc_lo, 0x7f800000, v17
                                        ; implicit-def: $vgpr17
	s_and_saveexec_b32 s8, vcc_lo
	s_xor_b32 s8, exec_lo, s8
; %bb.265:                              ;   in Loop: Header=BB2_226 Depth=2
	v_bfe_u32 v17, v101, 16, 1
	s_delay_alu instid0(VALU_DEP_1)
	v_add3_u32 v17, v101, v17, 0x7fff
                                        ; implicit-def: $vgpr101
; %bb.266:                              ;   in Loop: Header=BB2_226 Depth=2
	s_and_not1_saveexec_b32 s8, s8
; %bb.267:                              ;   in Loop: Header=BB2_226 Depth=2
	v_and_b32_e32 v17, 0xffff, v101
	v_or_b32_e32 v115, 0x10000, v101
	s_delay_alu instid0(VALU_DEP_2) | instskip(NEXT) | instid1(VALU_DEP_2)
	v_cmp_eq_u32_e32 vcc_lo, 0, v17
	v_cndmask_b32_e32 v17, v115, v101, vcc_lo
; %bb.268:                              ;   in Loop: Header=BB2_226 Depth=2
	s_or_b32 exec_lo, exec_lo, s8
	v_and_b32_e32 v101, 0xffff0000, v102
	v_lshlrev_b32_e32 v102, 16, v19
	s_delay_alu instid0(VALU_DEP_1) | instskip(NEXT) | instid1(VALU_DEP_1)
	v_add_f32_e32 v102, v102, v101
	v_and_b32_e32 v101, 0x7f800000, v102
	s_delay_alu instid0(VALU_DEP_1) | instskip(SKIP_1) | instid1(SALU_CYCLE_1)
	v_cmp_ne_u32_e32 vcc_lo, 0x7f800000, v101
                                        ; implicit-def: $vgpr101
	s_and_saveexec_b32 s8, vcc_lo
	s_xor_b32 s8, exec_lo, s8
; %bb.269:                              ;   in Loop: Header=BB2_226 Depth=2
	v_bfe_u32 v101, v102, 16, 1
	s_delay_alu instid0(VALU_DEP_1)
	v_add3_u32 v101, v102, v101, 0x7fff
                                        ; implicit-def: $vgpr102
; %bb.270:                              ;   in Loop: Header=BB2_226 Depth=2
	s_and_not1_saveexec_b32 s8, s8
; %bb.271:                              ;   in Loop: Header=BB2_226 Depth=2
	v_and_b32_e32 v101, 0xffff, v102
	v_or_b32_e32 v115, 0x10000, v102
	s_delay_alu instid0(VALU_DEP_2) | instskip(NEXT) | instid1(VALU_DEP_2)
	v_cmp_eq_u32_e32 vcc_lo, 0, v101
	v_cndmask_b32_e32 v101, v115, v102, vcc_lo
; %bb.272:                              ;   in Loop: Header=BB2_226 Depth=2
	s_or_b32 exec_lo, exec_lo, s8
	v_and_b32_e32 v19, 0xffff0000, v19
	v_and_b32_e32 v20, 0xffff0000, v20
	s_delay_alu instid0(VALU_DEP_1) | instskip(NEXT) | instid1(VALU_DEP_1)
	v_add_f32_e32 v20, v19, v20
	v_and_b32_e32 v19, 0x7f800000, v20
	s_delay_alu instid0(VALU_DEP_1) | instskip(SKIP_1) | instid1(SALU_CYCLE_1)
	v_cmp_ne_u32_e32 vcc_lo, 0x7f800000, v19
                                        ; implicit-def: $vgpr19
	s_and_saveexec_b32 s8, vcc_lo
	s_xor_b32 s8, exec_lo, s8
; %bb.273:                              ;   in Loop: Header=BB2_226 Depth=2
	v_bfe_u32 v19, v20, 16, 1
	s_delay_alu instid0(VALU_DEP_1)
	v_add3_u32 v19, v20, v19, 0x7fff
                                        ; implicit-def: $vgpr20
; %bb.274:                              ;   in Loop: Header=BB2_226 Depth=2
	s_and_not1_saveexec_b32 s8, s8
; %bb.275:                              ;   in Loop: Header=BB2_226 Depth=2
	v_and_b32_e32 v19, 0xffff, v20
	v_or_b32_e32 v102, 0x10000, v20
	s_delay_alu instid0(VALU_DEP_2) | instskip(NEXT) | instid1(VALU_DEP_2)
	v_cmp_eq_u32_e32 vcc_lo, 0, v19
	v_cndmask_b32_e32 v19, v102, v20, vcc_lo
; %bb.276:                              ;   in Loop: Header=BB2_226 Depth=2
	s_or_b32 exec_lo, exec_lo, s8
	v_cmp_lt_u32_e32 vcc_lo, 3, v146
	s_and_b32 s8, s7, vcc_lo
	s_delay_alu instid0(SALU_CYCLE_1) | instskip(SKIP_1) | instid1(VALU_DEP_1)
	v_cndmask_b32_e64 v20, 0, 1, s8
	;;#ASMSTART
	;;#ASMEND
	v_cmp_ne_u32_e64 s8, 0, v20
	s_delay_alu instid0(VALU_DEP_1)
	s_cmp_lg_u32 s8, exec_lo
	s_mov_b32 s8, -1
	s_cbranch_scc0 .LBB2_284
; %bb.277:                              ;   in Loop: Header=BB2_226 Depth=2
	s_mov_b32 s9, exec_lo
	flat_store_d16_hi_b16 v[98:99], v18
	v_cmpx_ne_u32_e32 1, v146
	s_cbranch_execz .LBB2_279
; %bb.278:                              ;   in Loop: Header=BB2_226 Depth=2
	flat_store_d16_hi_b16 v[98:99], v17 offset:2
.LBB2_279:                              ;   in Loop: Header=BB2_226 Depth=2
	s_or_b32 exec_lo, exec_lo, s9
	s_delay_alu instid0(SALU_CYCLE_1)
	s_mov_b32 s9, exec_lo
	v_cmpx_lt_u32_e32 2, v146
	s_cbranch_execz .LBB2_281
; %bb.280:                              ;   in Loop: Header=BB2_226 Depth=2
	flat_store_d16_hi_b16 v[98:99], v101 offset:4
.LBB2_281:                              ;   in Loop: Header=BB2_226 Depth=2
	s_or_b32 exec_lo, exec_lo, s9
	s_and_saveexec_b32 s8, vcc_lo
	s_cbranch_execz .LBB2_283
; %bb.282:                              ;   in Loop: Header=BB2_226 Depth=2
	flat_store_d16_hi_b16 v[98:99], v19 offset:6
.LBB2_283:                              ;   in Loop: Header=BB2_226 Depth=2
	s_or_b32 exec_lo, exec_lo, s8
	s_mov_b32 s8, 0
.LBB2_284:                              ;   in Loop: Header=BB2_226 Depth=2
	s_delay_alu instid0(SALU_CYCLE_1)
	s_and_b32 vcc_lo, exec_lo, s8
	s_cbranch_vccz .LBB2_225
; %bb.285:                              ;   in Loop: Header=BB2_226 Depth=2
	v_lshrrev_b32_e32 v18, 16, v18
	v_lshrrev_b32_e32 v20, 16, v101
	s_delay_alu instid0(VALU_DEP_2) | instskip(NEXT) | instid1(VALU_DEP_2)
	v_and_or_b32 v17, 0xffff0000, v17, v18
	v_and_or_b32 v18, 0xffff0000, v19, v20
	global_store_b64 v[98:99], v[17:18], off
	s_branch .LBB2_225
.LBB2_286:                              ;   in Loop: Header=BB2_32 Depth=1
	s_or_b32 exec_lo, exec_lo, s18
.LBB2_287:                              ;   in Loop: Header=BB2_32 Depth=1
	s_delay_alu instid0(SALU_CYCLE_1)
	s_or_b32 exec_lo, exec_lo, s10
	s_and_saveexec_b32 s8, s3
	s_cbranch_execz .LBB2_309
; %bb.288:                              ;   in Loop: Header=BB2_32 Depth=1
	s_and_saveexec_b32 s9, s4
	s_delay_alu instid0(SALU_CYCLE_1)
	s_xor_b32 s9, exec_lo, s9
	s_cbranch_execz .LBB2_306
; %bb.289:                              ;   in Loop: Header=BB2_32 Depth=1
	s_and_saveexec_b32 s10, s5
	s_cbranch_execz .LBB2_305
; %bb.290:                              ;   in Loop: Header=BB2_32 Depth=1
	s_mov_b32 s19, exec_lo
	s_mov_b32 s18, exec_lo
	v_mbcnt_lo_u32_b32 v17, s19, 0
	s_waitcnt vmcnt(0) lgkmcnt(0)
	s_waitcnt_vscnt null, 0x0
	buffer_gl1_inv
	buffer_gl0_inv
	v_cmpx_eq_u32_e32 0, v17
	s_cbranch_execz .LBB2_292
; %bb.291:                              ;   in Loop: Header=BB2_32 Depth=1
	s_bcnt1_i32_b32 s19, s19
	s_delay_alu instid0(SALU_CYCLE_1)
	v_mov_b32_e32 v54, s19
	ds_add_u64 v0, v[54:55]
	s_cbranch_execnz .LBB2_378
.LBB2_292:                              ;   in Loop: Header=BB2_32 Depth=1
	s_or_b32 exec_lo, exec_lo, s18
	s_cbranch_execnz .LBB2_366
; %bb.293:                              ;   in Loop: Header=BB2_32 Depth=1
	ds_load_b64 v[17:18], v0
	v_add_co_u32 v2, vcc_lo, v2, v118
	v_add_co_ci_u32_e32 v3, vcc_lo, v3, v71, vcc_lo
	s_mov_b32 s18, exec_lo
	s_waitcnt lgkmcnt(0)
	s_delay_alu instid0(VALU_DEP_1)
	v_cmpx_lt_u64_e64 v[17:18], v[2:3]
	s_cbranch_execz .LBB2_304
; %bb.294:                              ;   in Loop: Header=BB2_32 Depth=1
	s_mov_b32 s19, 0
	s_mov_b32 s22, 0
                                        ; implicit-def: $sgpr20
                                        ; implicit-def: $sgpr21
	s_branch .LBB2_296
.LBB2_295:                              ;   in Loop: Header=BB2_296 Depth=2
	s_or_b32 exec_lo, exec_lo, s25
	s_delay_alu instid0(SALU_CYCLE_1) | instskip(NEXT) | instid1(SALU_CYCLE_1)
	s_and_b32 s23, exec_lo, s24
	s_or_b32 s19, s23, s19
	s_and_not1_b32 s20, s20, exec_lo
	s_and_b32 s23, s21, exec_lo
	s_delay_alu instid0(SALU_CYCLE_1)
	s_or_b32 s20, s20, s23
	s_and_not1_b32 exec_lo, exec_lo, s19
	s_cbranch_execz .LBB2_302
.LBB2_296:                              ;   Parent Loop BB2_32 Depth=1
                                        ; =>  This Inner Loop Header: Depth=2
	s_add_i32 s22, s22, 1
                                        ; implicit-def: $sgpr24
	s_delay_alu instid0(SALU_CYCLE_1) | instskip(SKIP_1) | instid1(SALU_CYCLE_1)
	s_cmpk_lg_i32 s22, 0x2710
	s_cselect_b32 s23, -1, 0
	s_and_b32 vcc_lo, exec_lo, s23
	s_cbranch_vccz .LBB2_300
.LBB2_297:                              ;   in Loop: Header=BB2_296 Depth=2
	s_and_not1_b32 s21, s21, exec_lo
	s_and_b32 s25, s24, exec_lo
	s_mov_b32 s24, -1
	s_or_b32 s21, s21, s25
	s_and_saveexec_b32 s25, s23
	s_cbranch_execz .LBB2_295
; %bb.298:                              ;   in Loop: Header=BB2_296 Depth=2
	s_sleep 1
	s_cbranch_execnz .LBB2_386
; %bb.299:                              ;   in Loop: Header=BB2_296 Depth=2
	ds_load_b64 v[17:18], v0
	s_and_not1_b32 s21, s21, exec_lo
	s_waitcnt lgkmcnt(0)
	v_cmp_ge_u64_e32 vcc_lo, v[17:18], v[2:3]
	s_or_not1_b32 s24, vcc_lo, exec_lo
	s_branch .LBB2_295
.LBB2_300:                              ;   in Loop: Header=BB2_296 Depth=2
	s_cbranch_execnz .LBB2_388
; %bb.301:                              ;   in Loop: Header=BB2_296 Depth=2
	ds_load_b64 v[17:18], v0
	s_and_not1_b32 s23, s23, exec_lo
	s_mov_b32 s22, 0
	s_mov_b32 s24, -1
	s_waitcnt lgkmcnt(0)
	flat_load_b32 v17, v[17:18] glc
	s_waitcnt vmcnt(0) lgkmcnt(0)
	buffer_gl1_inv
	buffer_gl0_inv
	v_cmp_eq_u32_e32 vcc_lo, 0, v17
	s_and_b32 s25, vcc_lo, exec_lo
	s_delay_alu instid0(SALU_CYCLE_1)
	s_or_b32 s23, s23, s25
	s_branch .LBB2_297
.LBB2_302:                              ;   in Loop: Header=BB2_32 Depth=1
	s_or_b32 exec_lo, exec_lo, s19
	s_and_saveexec_b32 s19, s20
	s_delay_alu instid0(SALU_CYCLE_1)
	s_xor_b32 s19, exec_lo, s19
	s_cbranch_execz .LBB2_304
; %bb.303:                              ;   in Loop: Header=BB2_32 Depth=1
	ds_store_b32 v0, v144
	s_cbranch_execnz .LBB2_405
.LBB2_304:                              ;   in Loop: Header=BB2_32 Depth=1
	s_or_b32 exec_lo, exec_lo, s18
	;;#ASMSTART
	s_wakeup
	;;#ASMEND
.LBB2_305:                              ;   in Loop: Header=BB2_32 Depth=1
	s_or_b32 exec_lo, exec_lo, s10
.LBB2_306:                              ;   in Loop: Header=BB2_32 Depth=1
	s_and_not1_saveexec_b32 s9, s9
	s_cbranch_execz .LBB2_308
; %bb.307:                              ;   in Loop: Header=BB2_32 Depth=1
	s_waitcnt vmcnt(0) lgkmcnt(0)
	s_waitcnt_vscnt null, 0x0
	buffer_gl1_inv
	buffer_gl0_inv
	s_barrier
.LBB2_308:                              ;   in Loop: Header=BB2_32 Depth=1
	s_or_b32 exec_lo, exec_lo, s9
.LBB2_309:                              ;   in Loop: Header=BB2_32 Depth=1
	s_delay_alu instid0(SALU_CYCLE_1)
	s_or_b32 exec_lo, exec_lo, s8
	s_and_saveexec_b32 s8, s6
	s_cbranch_execz .LBB2_311
; %bb.310:                              ;   in Loop: Header=BB2_32 Depth=1
	v_add_co_u32 v48, vcc_lo, v48, 1
	v_add_co_ci_u32_e32 v49, vcc_lo, 0, v49, vcc_lo
	s_waitcnt vmcnt(0) lgkmcnt(0)
	s_waitcnt_vscnt null, 0x0
	flat_store_b64 v[36:37], v[48:49]
.LBB2_311:                              ;   in Loop: Header=BB2_32 Depth=1
	s_or_b32 exec_lo, exec_lo, s8
	v_add_co_u32 v5, vcc_lo, v5, v64
	v_add_co_ci_u32_e32 v6, vcc_lo, 0, v6, vcc_lo
	v_add_co_u32 v32, vcc_lo, v32, 1
	v_add_co_ci_u32_e32 v33, vcc_lo, 0, v33, vcc_lo
	s_delay_alu instid0(VALU_DEP_3) | instskip(SKIP_1) | instid1(VALU_DEP_1)
	v_cmp_ge_u64_e32 vcc_lo, v[5:6], v[7:8]
	v_add_co_u32 v9, s8, v9, v131
	v_add_co_ci_u32_e64 v10, s8, 0, v10, s8
	v_add_nc_u32_e32 v0, v0, v81
	s_or_b32 s16, vcc_lo, s16
	s_delay_alu instid0(SALU_CYCLE_1)
	s_and_not1_b32 exec_lo, exec_lo, s16
	s_cbranch_execnz .LBB2_32
; %bb.312:
	s_or_b32 exec_lo, exec_lo, s16
.LBB2_313:
	s_delay_alu instid0(SALU_CYCLE_1)
	s_or_b32 exec_lo, exec_lo, s12
	s_and_saveexec_b32 s1, s11
	s_cbranch_execz .LBB2_315
; %bb.314:
	s_waitcnt lgkmcnt(0)
	flat_store_b64 v[27:28], v[48:49] offset:104
.LBB2_315:
	s_or_b32 exec_lo, exec_lo, s1
	s_and_saveexec_b32 s1, s0
	s_cbranch_execz .LBB2_317
; %bb.316:
	s_waitcnt lgkmcnt(0)
	flat_store_b64 v[34:35], v[15:16] offset:104
.LBB2_317:
	s_or_b32 exec_lo, exec_lo, s1
	s_delay_alu instid0(SALU_CYCLE_1)
	s_mov_b32 s0, exec_lo
	v_cmpx_ne_u32_e32 32, v1
	s_cbranch_execz .LBB2_396
; %bb.318:
	s_mov_b32 s1, exec_lo
	v_cmpx_ne_u32_e64 v116, v1
	s_xor_b32 s1, exec_lo, s1
	s_cbranch_execz .LBB2_394
; %bb.319:
	v_and_b32_e32 v0, 31, v31
	s_mov_b32 s2, exec_lo
	s_delay_alu instid0(VALU_DEP_1)
	v_cmpx_eq_u32_e32 0, v0
	s_cbranch_execz .LBB2_393
; %bb.320:
	s_mov_b32 s4, exec_lo
	s_mov_b32 s3, exec_lo
	v_mbcnt_lo_u32_b32 v0, s4, 0
	s_waitcnt vmcnt(0) lgkmcnt(0)
	s_waitcnt_vscnt null, 0x0
	buffer_gl1_inv
	buffer_gl0_inv
	v_cmpx_eq_u32_e32 0, v0
	s_cbranch_execz .LBB2_322
; %bb.321:
	s_bcnt1_i32_b32 s4, s4
	s_delay_alu instid0(SALU_CYCLE_1)
	v_dual_mov_b32 v5, 0 :: v_dual_mov_b32 v4, s4
	ds_add_u64 v0, v[4:5]
	s_cbranch_execnz .LBB2_354
.LBB2_322:
	s_or_b32 exec_lo, exec_lo, s3
	s_cbranch_execnz .LBB2_339
; %bb.323:
	v_ashrrev_i32_e32 v0, 31, v1
	s_mov_b32 s3, exec_lo
	s_delay_alu instid0(VALU_DEP_1) | instskip(NEXT) | instid1(VALU_DEP_1)
	v_lshrrev_b32_e32 v0, 27, v0
	v_add_nc_u32_e32 v0, v1, v0
	ds_load_b64 v[4:5], v0
	v_ashrrev_i32_e32 v0, 5, v0
	s_delay_alu instid0(VALU_DEP_1) | instskip(SKIP_1) | instid1(VALU_DEP_2)
	v_ashrrev_i32_e32 v1, 31, v0
	v_add_co_u32 v0, vcc_lo, v2, v0
	v_add_co_ci_u32_e32 v1, vcc_lo, v3, v1, vcc_lo
	s_waitcnt lgkmcnt(0)
	s_delay_alu instid0(VALU_DEP_1)
	v_cmpx_lt_u64_e64 v[4:5], v[0:1]
	s_cbranch_execz .LBB2_392
; %bb.324:
	s_mov_b32 s4, 0
	s_mov_b32 s7, 0
                                        ; implicit-def: $sgpr5
                                        ; implicit-def: $sgpr6
	s_branch .LBB2_344
.LBB2_325:
	s_trap 2
	s_sendmsg_rtn_b32 s0, sendmsg(MSG_RTN_GET_DOORBELL)
	s_mov_b32 ttmp2, m0
	s_waitcnt lgkmcnt(0)
	s_and_b32 s0, s0, 0x3ff
	s_delay_alu instid0(SALU_CYCLE_1) | instskip(NEXT) | instid1(SALU_CYCLE_1)
	s_bitset1_b32 s0, 10
	s_mov_b32 m0, s0
	s_sendmsg sendmsg(MSG_INTERRUPT)
	s_mov_b32 m0, ttmp2
.LBB2_326:                              ; =>This Inner Loop Header: Depth=1
	s_sethalt 5
	s_branch .LBB2_326
.LBB2_327:
	s_trap 2
	s_sendmsg_rtn_b32 s0, sendmsg(MSG_RTN_GET_DOORBELL)
	s_mov_b32 ttmp2, m0
	s_waitcnt lgkmcnt(0)
	s_and_b32 s0, s0, 0x3ff
	s_delay_alu instid0(SALU_CYCLE_1) | instskip(NEXT) | instid1(SALU_CYCLE_1)
	s_bitset1_b32 s0, 10
	s_mov_b32 m0, s0
	s_sendmsg sendmsg(MSG_INTERRUPT)
	s_mov_b32 m0, ttmp2
.LBB2_328:                              ; =>This Inner Loop Header: Depth=1
	s_sethalt 5
	s_branch .LBB2_328
.LBB2_329:
	s_trap 2
	s_sendmsg_rtn_b32 s0, sendmsg(MSG_RTN_GET_DOORBELL)
	s_mov_b32 ttmp2, m0
	s_waitcnt lgkmcnt(0)
	s_and_b32 s0, s0, 0x3ff
	s_delay_alu instid0(SALU_CYCLE_1) | instskip(NEXT) | instid1(SALU_CYCLE_1)
	s_bitset1_b32 s0, 10
	s_mov_b32 m0, s0
	s_sendmsg sendmsg(MSG_INTERRUPT)
	s_mov_b32 m0, ttmp2
.LBB2_330:                              ; =>This Inner Loop Header: Depth=1
	s_sethalt 5
	s_branch .LBB2_330
.LBB2_331:
	s_trap 2
	s_sendmsg_rtn_b32 s0, sendmsg(MSG_RTN_GET_DOORBELL)
	s_mov_b32 ttmp2, m0
	s_waitcnt lgkmcnt(0)
	s_and_b32 s0, s0, 0x3ff
	s_delay_alu instid0(SALU_CYCLE_1) | instskip(NEXT) | instid1(SALU_CYCLE_1)
	s_bitset1_b32 s0, 10
	s_mov_b32 m0, s0
	s_sendmsg sendmsg(MSG_INTERRUPT)
	s_mov_b32 m0, ttmp2
.LBB2_332:                              ; =>This Inner Loop Header: Depth=1
	s_sethalt 5
	s_branch .LBB2_332
.LBB2_333:
	s_trap 2
	s_sendmsg_rtn_b32 s0, sendmsg(MSG_RTN_GET_DOORBELL)
	s_mov_b32 ttmp2, m0
	s_waitcnt lgkmcnt(0)
	s_and_b32 s0, s0, 0x3ff
	s_delay_alu instid0(SALU_CYCLE_1) | instskip(NEXT) | instid1(SALU_CYCLE_1)
	s_bitset1_b32 s0, 10
	s_mov_b32 m0, s0
	s_sendmsg sendmsg(MSG_INTERRUPT)
	s_mov_b32 m0, ttmp2
.LBB2_334:                              ; =>This Inner Loop Header: Depth=1
	s_sethalt 5
	s_branch .LBB2_334
.LBB2_335:
	s_trap 2
	s_sendmsg_rtn_b32 s0, sendmsg(MSG_RTN_GET_DOORBELL)
	s_mov_b32 ttmp2, m0
	s_waitcnt lgkmcnt(0)
	s_and_b32 s0, s0, 0x3ff
	s_delay_alu instid0(SALU_CYCLE_1) | instskip(NEXT) | instid1(SALU_CYCLE_1)
	s_bitset1_b32 s0, 10
	s_mov_b32 m0, s0
	s_sendmsg sendmsg(MSG_INTERRUPT)
	s_mov_b32 m0, ttmp2
.LBB2_336:                              ; =>This Inner Loop Header: Depth=1
	s_sethalt 5
	s_branch .LBB2_336
.LBB2_337:
	s_trap 2
	s_sendmsg_rtn_b32 s0, sendmsg(MSG_RTN_GET_DOORBELL)
	s_mov_b32 ttmp2, m0
	s_waitcnt lgkmcnt(0)
	s_and_b32 s0, s0, 0x3ff
	s_delay_alu instid0(SALU_CYCLE_1) | instskip(NEXT) | instid1(SALU_CYCLE_1)
	s_bitset1_b32 s0, 10
	s_mov_b32 m0, s0
	s_sendmsg sendmsg(MSG_INTERRUPT)
	s_mov_b32 m0, ttmp2
.LBB2_338:                              ; =>This Inner Loop Header: Depth=1
	s_sethalt 5
	s_branch .LBB2_338
.LBB2_339:
	s_trap 2
	s_sendmsg_rtn_b32 s0, sendmsg(MSG_RTN_GET_DOORBELL)
	s_mov_b32 ttmp2, m0
	s_waitcnt lgkmcnt(0)
	s_and_b32 s0, s0, 0x3ff
	s_delay_alu instid0(SALU_CYCLE_1) | instskip(NEXT) | instid1(SALU_CYCLE_1)
	s_bitset1_b32 s0, 10
	s_mov_b32 m0, s0
	s_sendmsg sendmsg(MSG_INTERRUPT)
	s_mov_b32 m0, ttmp2
.LBB2_340:                              ; =>This Inner Loop Header: Depth=1
	s_sethalt 5
	s_branch .LBB2_340
.LBB2_341:
	s_trap 2
	s_sendmsg_rtn_b32 s0, sendmsg(MSG_RTN_GET_DOORBELL)
	s_mov_b32 ttmp2, m0
	s_waitcnt lgkmcnt(0)
	s_and_b32 s0, s0, 0x3ff
	s_delay_alu instid0(SALU_CYCLE_1) | instskip(NEXT) | instid1(SALU_CYCLE_1)
	s_bitset1_b32 s0, 10
	s_mov_b32 m0, s0
	s_sendmsg sendmsg(MSG_INTERRUPT)
	s_mov_b32 m0, ttmp2
.LBB2_342:                              ; =>This Inner Loop Header: Depth=1
	s_sethalt 5
	s_branch .LBB2_342
.LBB2_343:                              ;   in Loop: Header=BB2_344 Depth=1
	s_or_b32 exec_lo, exec_lo, s10
	s_delay_alu instid0(SALU_CYCLE_1) | instskip(NEXT) | instid1(SALU_CYCLE_1)
	s_and_b32 s8, exec_lo, s9
	s_or_b32 s4, s8, s4
	s_and_not1_b32 s5, s5, exec_lo
	s_and_b32 s8, s6, exec_lo
	s_delay_alu instid0(SALU_CYCLE_1)
	s_or_b32 s5, s5, s8
	s_and_not1_b32 exec_lo, exec_lo, s4
	s_cbranch_execz .LBB2_390
.LBB2_344:                              ; =>This Inner Loop Header: Depth=1
	s_add_i32 s7, s7, 1
                                        ; implicit-def: $sgpr9
	s_delay_alu instid0(SALU_CYCLE_1) | instskip(SKIP_1) | instid1(SALU_CYCLE_1)
	s_cmpk_lg_i32 s7, 0x2710
	s_cselect_b32 s8, -1, 0
	s_and_b32 vcc_lo, exec_lo, s8
	s_cbranch_vccz .LBB2_348
.LBB2_345:                              ;   in Loop: Header=BB2_344 Depth=1
	s_and_not1_b32 s6, s6, exec_lo
	s_and_b32 s10, s9, exec_lo
	s_mov_b32 s9, -1
	s_or_b32 s6, s6, s10
	s_and_saveexec_b32 s10, s8
	s_cbranch_execz .LBB2_343
; %bb.346:                              ;   in Loop: Header=BB2_344 Depth=1
	s_sleep 1
	s_cbranch_execnz .LBB2_368
; %bb.347:                              ;   in Loop: Header=BB2_344 Depth=1
	ds_load_b64 v[2:3], v0
	s_and_not1_b32 s6, s6, exec_lo
	s_waitcnt lgkmcnt(0)
	v_cmp_ge_u64_e32 vcc_lo, v[2:3], v[0:1]
	s_or_not1_b32 s9, vcc_lo, exec_lo
	s_branch .LBB2_343
.LBB2_348:                              ;   in Loop: Header=BB2_344 Depth=1
	s_cbranch_execnz .LBB2_374
; %bb.349:                              ;   in Loop: Header=BB2_344 Depth=1
	ds_load_b64 v[2:3], v0
	s_and_not1_b32 s8, s8, exec_lo
	s_mov_b32 s7, 0
	s_mov_b32 s9, -1
	s_waitcnt lgkmcnt(0)
	flat_load_b32 v2, v[2:3] glc
	s_waitcnt vmcnt(0) lgkmcnt(0)
	buffer_gl1_inv
	buffer_gl0_inv
	v_cmp_eq_u32_e32 vcc_lo, 0, v2
	s_and_b32 s10, vcc_lo, exec_lo
	s_delay_alu instid0(SALU_CYCLE_1)
	s_or_b32 s8, s8, s10
	s_branch .LBB2_345
.LBB2_350:
	s_trap 2
	s_sendmsg_rtn_b32 s0, sendmsg(MSG_RTN_GET_DOORBELL)
	s_mov_b32 ttmp2, m0
	s_waitcnt lgkmcnt(0)
	s_and_b32 s0, s0, 0x3ff
	s_delay_alu instid0(SALU_CYCLE_1) | instskip(NEXT) | instid1(SALU_CYCLE_1)
	s_bitset1_b32 s0, 10
	s_mov_b32 m0, s0
	s_sendmsg sendmsg(MSG_INTERRUPT)
	s_mov_b32 m0, ttmp2
.LBB2_351:                              ; =>This Inner Loop Header: Depth=1
	s_sethalt 5
	s_branch .LBB2_351
.LBB2_352:
	s_trap 2
	s_sendmsg_rtn_b32 s0, sendmsg(MSG_RTN_GET_DOORBELL)
	s_mov_b32 ttmp2, m0
	s_waitcnt lgkmcnt(0)
	s_and_b32 s0, s0, 0x3ff
	s_delay_alu instid0(SALU_CYCLE_1) | instskip(NEXT) | instid1(SALU_CYCLE_1)
	s_bitset1_b32 s0, 10
	s_mov_b32 m0, s0
	s_sendmsg sendmsg(MSG_INTERRUPT)
	s_mov_b32 m0, ttmp2
.LBB2_353:                              ; =>This Inner Loop Header: Depth=1
	s_sethalt 5
	s_branch .LBB2_353
.LBB2_354:
	s_trap 2
	s_sendmsg_rtn_b32 s0, sendmsg(MSG_RTN_GET_DOORBELL)
	s_mov_b32 ttmp2, m0
	s_waitcnt lgkmcnt(0)
	s_and_b32 s0, s0, 0x3ff
	s_delay_alu instid0(SALU_CYCLE_1) | instskip(NEXT) | instid1(SALU_CYCLE_1)
	s_bitset1_b32 s0, 10
	s_mov_b32 m0, s0
	s_sendmsg sendmsg(MSG_INTERRUPT)
	s_mov_b32 m0, ttmp2
.LBB2_355:                              ; =>This Inner Loop Header: Depth=1
	s_sethalt 5
	s_branch .LBB2_355
.LBB2_356:
	s_trap 2
	s_sendmsg_rtn_b32 s0, sendmsg(MSG_RTN_GET_DOORBELL)
	s_mov_b32 ttmp2, m0
	s_waitcnt lgkmcnt(0)
	s_and_b32 s0, s0, 0x3ff
	s_delay_alu instid0(SALU_CYCLE_1) | instskip(NEXT) | instid1(SALU_CYCLE_1)
	s_bitset1_b32 s0, 10
	s_mov_b32 m0, s0
	s_sendmsg sendmsg(MSG_INTERRUPT)
	s_mov_b32 m0, ttmp2
.LBB2_357:                              ; =>This Inner Loop Header: Depth=1
	s_sethalt 5
	s_branch .LBB2_357
.LBB2_358:
	s_trap 2
	s_sendmsg_rtn_b32 s0, sendmsg(MSG_RTN_GET_DOORBELL)
	s_mov_b32 ttmp2, m0
	s_waitcnt lgkmcnt(0)
	s_and_b32 s0, s0, 0x3ff
	s_delay_alu instid0(SALU_CYCLE_1) | instskip(NEXT) | instid1(SALU_CYCLE_1)
	s_bitset1_b32 s0, 10
	s_mov_b32 m0, s0
	s_sendmsg sendmsg(MSG_INTERRUPT)
	s_mov_b32 m0, ttmp2
.LBB2_359:                              ; =>This Inner Loop Header: Depth=1
	s_sethalt 5
	s_branch .LBB2_359
.LBB2_360:
	s_trap 2
	s_sendmsg_rtn_b32 s0, sendmsg(MSG_RTN_GET_DOORBELL)
	s_mov_b32 ttmp2, m0
	s_waitcnt lgkmcnt(0)
	s_and_b32 s0, s0, 0x3ff
	s_delay_alu instid0(SALU_CYCLE_1) | instskip(NEXT) | instid1(SALU_CYCLE_1)
	s_bitset1_b32 s0, 10
	s_mov_b32 m0, s0
	s_sendmsg sendmsg(MSG_INTERRUPT)
	s_mov_b32 m0, ttmp2
.LBB2_361:                              ; =>This Inner Loop Header: Depth=1
	s_sethalt 5
	s_branch .LBB2_361
.LBB2_362:
	s_trap 2
	s_sendmsg_rtn_b32 s0, sendmsg(MSG_RTN_GET_DOORBELL)
	s_mov_b32 ttmp2, m0
	s_waitcnt lgkmcnt(0)
	s_and_b32 s0, s0, 0x3ff
	s_delay_alu instid0(SALU_CYCLE_1) | instskip(NEXT) | instid1(SALU_CYCLE_1)
	s_bitset1_b32 s0, 10
	s_mov_b32 m0, s0
	s_sendmsg sendmsg(MSG_INTERRUPT)
	s_mov_b32 m0, ttmp2
.LBB2_363:                              ; =>This Inner Loop Header: Depth=1
	s_sethalt 5
	s_branch .LBB2_363
.LBB2_364:
	s_trap 2
	s_sendmsg_rtn_b32 s0, sendmsg(MSG_RTN_GET_DOORBELL)
	s_mov_b32 ttmp2, m0
	s_waitcnt lgkmcnt(0)
	s_and_b32 s0, s0, 0x3ff
	s_delay_alu instid0(SALU_CYCLE_1) | instskip(NEXT) | instid1(SALU_CYCLE_1)
	s_bitset1_b32 s0, 10
	s_mov_b32 m0, s0
	s_sendmsg sendmsg(MSG_INTERRUPT)
	s_mov_b32 m0, ttmp2
.LBB2_365:                              ; =>This Inner Loop Header: Depth=1
	s_sethalt 5
	s_branch .LBB2_365
.LBB2_366:
	s_trap 2
	s_sendmsg_rtn_b32 s0, sendmsg(MSG_RTN_GET_DOORBELL)
	s_mov_b32 ttmp2, m0
	s_waitcnt lgkmcnt(0)
	s_and_b32 s0, s0, 0x3ff
	s_delay_alu instid0(SALU_CYCLE_1) | instskip(NEXT) | instid1(SALU_CYCLE_1)
	s_bitset1_b32 s0, 10
	s_mov_b32 m0, s0
	s_sendmsg sendmsg(MSG_INTERRUPT)
	s_mov_b32 m0, ttmp2
.LBB2_367:                              ; =>This Inner Loop Header: Depth=1
	s_sethalt 5
	s_branch .LBB2_367
.LBB2_368:
	s_trap 2
	s_sendmsg_rtn_b32 s0, sendmsg(MSG_RTN_GET_DOORBELL)
	s_mov_b32 ttmp2, m0
	s_waitcnt lgkmcnt(0)
	s_and_b32 s0, s0, 0x3ff
	s_delay_alu instid0(SALU_CYCLE_1) | instskip(NEXT) | instid1(SALU_CYCLE_1)
	s_bitset1_b32 s0, 10
	s_mov_b32 m0, s0
	s_sendmsg sendmsg(MSG_INTERRUPT)
	s_mov_b32 m0, ttmp2
.LBB2_369:                              ; =>This Inner Loop Header: Depth=1
	s_sethalt 5
	s_branch .LBB2_369
.LBB2_370:
	s_trap 2
	s_sendmsg_rtn_b32 s0, sendmsg(MSG_RTN_GET_DOORBELL)
	s_mov_b32 ttmp2, m0
	s_waitcnt lgkmcnt(0)
	s_and_b32 s0, s0, 0x3ff
	s_delay_alu instid0(SALU_CYCLE_1) | instskip(NEXT) | instid1(SALU_CYCLE_1)
	s_bitset1_b32 s0, 10
	s_mov_b32 m0, s0
	s_sendmsg sendmsg(MSG_INTERRUPT)
	s_mov_b32 m0, ttmp2
.LBB2_371:                              ; =>This Inner Loop Header: Depth=1
	s_sethalt 5
	s_branch .LBB2_371
.LBB2_372:
	s_trap 2
	s_sendmsg_rtn_b32 s0, sendmsg(MSG_RTN_GET_DOORBELL)
	s_mov_b32 ttmp2, m0
	s_waitcnt lgkmcnt(0)
	s_and_b32 s0, s0, 0x3ff
	s_delay_alu instid0(SALU_CYCLE_1) | instskip(NEXT) | instid1(SALU_CYCLE_1)
	s_bitset1_b32 s0, 10
	s_mov_b32 m0, s0
	s_sendmsg sendmsg(MSG_INTERRUPT)
	s_mov_b32 m0, ttmp2
.LBB2_373:                              ; =>This Inner Loop Header: Depth=1
	s_sethalt 5
	s_branch .LBB2_373
.LBB2_374:
	s_trap 2
	s_sendmsg_rtn_b32 s0, sendmsg(MSG_RTN_GET_DOORBELL)
	s_mov_b32 ttmp2, m0
	s_waitcnt lgkmcnt(0)
	s_and_b32 s0, s0, 0x3ff
	s_delay_alu instid0(SALU_CYCLE_1) | instskip(NEXT) | instid1(SALU_CYCLE_1)
	s_bitset1_b32 s0, 10
	s_mov_b32 m0, s0
	s_sendmsg sendmsg(MSG_INTERRUPT)
	s_mov_b32 m0, ttmp2
.LBB2_375:                              ; =>This Inner Loop Header: Depth=1
	s_sethalt 5
	s_branch .LBB2_375
.LBB2_376:
	s_trap 2
	s_sendmsg_rtn_b32 s0, sendmsg(MSG_RTN_GET_DOORBELL)
	s_mov_b32 ttmp2, m0
	s_waitcnt lgkmcnt(0)
	s_and_b32 s0, s0, 0x3ff
	s_delay_alu instid0(SALU_CYCLE_1) | instskip(NEXT) | instid1(SALU_CYCLE_1)
	s_bitset1_b32 s0, 10
	s_mov_b32 m0, s0
	s_sendmsg sendmsg(MSG_INTERRUPT)
	s_mov_b32 m0, ttmp2
.LBB2_377:                              ; =>This Inner Loop Header: Depth=1
	s_sethalt 5
	s_branch .LBB2_377
.LBB2_378:
	s_trap 2
	s_sendmsg_rtn_b32 s0, sendmsg(MSG_RTN_GET_DOORBELL)
	s_mov_b32 ttmp2, m0
	s_waitcnt lgkmcnt(0)
	s_and_b32 s0, s0, 0x3ff
	s_delay_alu instid0(SALU_CYCLE_1) | instskip(NEXT) | instid1(SALU_CYCLE_1)
	s_bitset1_b32 s0, 10
	s_mov_b32 m0, s0
	s_sendmsg sendmsg(MSG_INTERRUPT)
	s_mov_b32 m0, ttmp2
.LBB2_379:                              ; =>This Inner Loop Header: Depth=1
	s_sethalt 5
	s_branch .LBB2_379
.LBB2_380:
	s_trap 2
	s_sendmsg_rtn_b32 s0, sendmsg(MSG_RTN_GET_DOORBELL)
	s_mov_b32 ttmp2, m0
	s_waitcnt lgkmcnt(0)
	s_and_b32 s0, s0, 0x3ff
	s_delay_alu instid0(SALU_CYCLE_1) | instskip(NEXT) | instid1(SALU_CYCLE_1)
	s_bitset1_b32 s0, 10
	s_mov_b32 m0, s0
	s_sendmsg sendmsg(MSG_INTERRUPT)
	s_mov_b32 m0, ttmp2
.LBB2_381:                              ; =>This Inner Loop Header: Depth=1
	s_sethalt 5
	s_branch .LBB2_381
.LBB2_382:
	s_trap 2
	s_sendmsg_rtn_b32 s0, sendmsg(MSG_RTN_GET_DOORBELL)
	s_mov_b32 ttmp2, m0
	s_waitcnt lgkmcnt(0)
	s_and_b32 s0, s0, 0x3ff
	s_delay_alu instid0(SALU_CYCLE_1) | instskip(NEXT) | instid1(SALU_CYCLE_1)
	s_bitset1_b32 s0, 10
	s_mov_b32 m0, s0
	s_sendmsg sendmsg(MSG_INTERRUPT)
	s_mov_b32 m0, ttmp2
.LBB2_383:                              ; =>This Inner Loop Header: Depth=1
	s_sethalt 5
	s_branch .LBB2_383
.LBB2_384:
	s_trap 2
	s_sendmsg_rtn_b32 s0, sendmsg(MSG_RTN_GET_DOORBELL)
	s_mov_b32 ttmp2, m0
	s_waitcnt lgkmcnt(0)
	s_and_b32 s0, s0, 0x3ff
	s_delay_alu instid0(SALU_CYCLE_1) | instskip(NEXT) | instid1(SALU_CYCLE_1)
	s_bitset1_b32 s0, 10
	s_mov_b32 m0, s0
	s_sendmsg sendmsg(MSG_INTERRUPT)
	s_mov_b32 m0, ttmp2
.LBB2_385:                              ; =>This Inner Loop Header: Depth=1
	s_sethalt 5
	s_branch .LBB2_385
.LBB2_386:
	s_trap 2
	s_sendmsg_rtn_b32 s0, sendmsg(MSG_RTN_GET_DOORBELL)
	s_mov_b32 ttmp2, m0
	s_waitcnt lgkmcnt(0)
	s_and_b32 s0, s0, 0x3ff
	s_delay_alu instid0(SALU_CYCLE_1) | instskip(NEXT) | instid1(SALU_CYCLE_1)
	s_bitset1_b32 s0, 10
	s_mov_b32 m0, s0
	s_sendmsg sendmsg(MSG_INTERRUPT)
	s_mov_b32 m0, ttmp2
.LBB2_387:                              ; =>This Inner Loop Header: Depth=1
	s_sethalt 5
	s_branch .LBB2_387
.LBB2_388:
	s_trap 2
	s_sendmsg_rtn_b32 s0, sendmsg(MSG_RTN_GET_DOORBELL)
	s_mov_b32 ttmp2, m0
	s_waitcnt lgkmcnt(0)
	s_and_b32 s0, s0, 0x3ff
	s_delay_alu instid0(SALU_CYCLE_1) | instskip(NEXT) | instid1(SALU_CYCLE_1)
	s_bitset1_b32 s0, 10
	s_mov_b32 m0, s0
	s_sendmsg sendmsg(MSG_INTERRUPT)
	s_mov_b32 m0, ttmp2
.LBB2_389:                              ; =>This Inner Loop Header: Depth=1
	s_sethalt 5
	s_branch .LBB2_389
.LBB2_390:
	s_or_b32 exec_lo, exec_lo, s4
	s_and_saveexec_b32 s4, s5
	s_delay_alu instid0(SALU_CYCLE_1)
	s_xor_b32 s4, exec_lo, s4
	s_cbranch_execz .LBB2_392
; %bb.391:
	v_mov_b32_e32 v0, 1
	ds_store_b32 v0, v0
	s_cbranch_execnz .LBB2_399
.LBB2_392:
	s_or_b32 exec_lo, exec_lo, s3
	;;#ASMSTART
	s_wakeup
	;;#ASMEND
.LBB2_393:
	s_or_b32 exec_lo, exec_lo, s2
.LBB2_394:
	s_and_not1_saveexec_b32 s1, s1
	s_cbranch_execz .LBB2_396
; %bb.395:
	s_waitcnt vmcnt(0) lgkmcnt(0)
	s_waitcnt_vscnt null, 0x0
	buffer_gl1_inv
	buffer_gl0_inv
	s_barrier
.LBB2_396:
	s_or_b32 exec_lo, exec_lo, s0
	s_waitcnt vmcnt(0) lgkmcnt(0)
	s_setpc_b64 s[30:31]
.LBB2_397:
	s_trap 2
	s_sendmsg_rtn_b32 s0, sendmsg(MSG_RTN_GET_DOORBELL)
	s_mov_b32 ttmp2, m0
	s_waitcnt lgkmcnt(0)
	s_and_b32 s0, s0, 0x3ff
	s_delay_alu instid0(SALU_CYCLE_1) | instskip(NEXT) | instid1(SALU_CYCLE_1)
	s_bitset1_b32 s0, 10
	s_mov_b32 m0, s0
	s_sendmsg sendmsg(MSG_INTERRUPT)
	s_mov_b32 m0, ttmp2
.LBB2_398:                              ; =>This Inner Loop Header: Depth=1
	s_sethalt 5
	s_branch .LBB2_398
.LBB2_399:
	s_trap 2
	s_sendmsg_rtn_b32 s0, sendmsg(MSG_RTN_GET_DOORBELL)
	s_mov_b32 ttmp2, m0
	s_waitcnt lgkmcnt(0)
	s_and_b32 s0, s0, 0x3ff
	s_delay_alu instid0(SALU_CYCLE_1) | instskip(NEXT) | instid1(SALU_CYCLE_1)
	s_bitset1_b32 s0, 10
	s_mov_b32 m0, s0
	s_sendmsg sendmsg(MSG_INTERRUPT)
	s_mov_b32 m0, ttmp2
.LBB2_400:                              ; =>This Inner Loop Header: Depth=1
	s_sethalt 5
	s_branch .LBB2_400
.LBB2_401:
	s_trap 2
	s_sendmsg_rtn_b32 s0, sendmsg(MSG_RTN_GET_DOORBELL)
	s_mov_b32 ttmp2, m0
	s_waitcnt lgkmcnt(0)
	s_and_b32 s0, s0, 0x3ff
	s_delay_alu instid0(SALU_CYCLE_1) | instskip(NEXT) | instid1(SALU_CYCLE_1)
	s_bitset1_b32 s0, 10
	s_mov_b32 m0, s0
	s_sendmsg sendmsg(MSG_INTERRUPT)
	s_mov_b32 m0, ttmp2
.LBB2_402:                              ; =>This Inner Loop Header: Depth=1
	s_sethalt 5
	s_branch .LBB2_402
.LBB2_403:
	s_trap 2
	s_sendmsg_rtn_b32 s0, sendmsg(MSG_RTN_GET_DOORBELL)
	s_mov_b32 ttmp2, m0
	s_waitcnt lgkmcnt(0)
	s_and_b32 s0, s0, 0x3ff
	s_delay_alu instid0(SALU_CYCLE_1) | instskip(NEXT) | instid1(SALU_CYCLE_1)
	s_bitset1_b32 s0, 10
	s_mov_b32 m0, s0
	s_sendmsg sendmsg(MSG_INTERRUPT)
	s_mov_b32 m0, ttmp2
.LBB2_404:                              ; =>This Inner Loop Header: Depth=1
	s_sethalt 5
	s_branch .LBB2_404
.LBB2_405:
	s_trap 2
	s_sendmsg_rtn_b32 s0, sendmsg(MSG_RTN_GET_DOORBELL)
	s_mov_b32 ttmp2, m0
	s_waitcnt lgkmcnt(0)
	s_and_b32 s0, s0, 0x3ff
	s_delay_alu instid0(SALU_CYCLE_1) | instskip(NEXT) | instid1(SALU_CYCLE_1)
	s_bitset1_b32 s0, 10
	s_mov_b32 m0, s0
	s_sendmsg sendmsg(MSG_INTERRUPT)
	s_mov_b32 m0, ttmp2
.LBB2_406:                              ; =>This Inner Loop Header: Depth=1
	s_sethalt 5
	s_branch .LBB2_406
.Lfunc_end2:
	.size	_ZN12_GLOBAL__N_17runRingI12hip_bfloat1613FuncPreMulSumIS1_E7ProtoLLLi0ELi2ELi0EEEviiP15ncclDevWorkColl, .Lfunc_end2-_ZN12_GLOBAL__N_17runRingI12hip_bfloat1613FuncPreMulSumIS1_E7ProtoLLLi0ELi2ELi0EEEviiP15ncclDevWorkColl
                                        ; -- End function
	.section	.AMDGPU.csdata,"",@progbits
; Function info:
; codeLenInByte = 12040
; NumSgprs: 34
; NumVgprs: 179
; ScratchSize: 0
; MemoryBound: 0
	.text
	.p2align	2                               ; -- Begin function _Z54ncclDevFunc_ReduceScatter_RING_LL_PreMulSum_bf16_0_0_2v
	.type	_Z54ncclDevFunc_ReduceScatter_RING_LL_PreMulSum_bf16_0_0_2v,@function
_Z54ncclDevFunc_ReduceScatter_RING_LL_PreMulSum_bf16_0_0_2v: ; @_Z54ncclDevFunc_ReduceScatter_RING_LL_PreMulSum_bf16_0_0_2v
; %bb.0:
	s_waitcnt vmcnt(0) expcnt(0) lgkmcnt(0)
	s_mov_b32 s0, s33
	s_mov_b32 s33, s32
	s_or_saveexec_b32 s1, -1
	scratch_store_b32 off, v40, s33         ; 4-byte Folded Spill
	s_mov_b32 exec_lo, s1
	v_writelane_b32 v40, s0, 6
	s_add_i32 s32, s32, 16
	v_writelane_b32 v40, s34, 0
	v_writelane_b32 v40, s35, 1
	;; [unrolled: 1-line block ×6, first 2 shown]
	s_cbranch_execnz .LBB3_7
; %bb.1:
	ds_load_b32 v0, v0
	v_and_b32_e32 v179, 0x3ff, v31
	s_mov_b32 s0, exec_lo
	s_waitcnt lgkmcnt(0)
	s_delay_alu instid0(VALU_DEP_1)
	v_cmpx_lt_i32_e64 v179, v0
	s_cbranch_execz .LBB3_9
; %bb.2:
	s_load_b32 s1, s[8:9], 0x0
	v_mov_b32_e32 v1, 0
	s_waitcnt lgkmcnt(0)
	s_cmp_lt_u32 s12, s1
	s_cselect_b32 s1, 12, 18
	s_delay_alu instid0(SALU_CYCLE_1)
	s_add_u32 s2, s8, s1
	s_addc_u32 s3, s9, 0
	s_mov_b32 s1, 0
	global_load_u16 v1, v1, s[2:3]
	s_cbranch_execnz .LBB3_24
; %bb.3:
	ds_load_b32 v2, v0
	v_mov_b32_e32 v3, v179
	s_mov_b32 s2, 0
                                        ; implicit-def: $vgpr4
	s_waitcnt vmcnt(0) lgkmcnt(0)
	v_mul_lo_u32 v2, v2, v1
	s_branch .LBB3_5
	.p2align	6
.LBB3_4:                                ;   in Loop: Header=BB3_5 Depth=1
	s_or_b32 exec_lo, exec_lo, s3
	v_add_nc_u32_e32 v3, v3, v1
	v_add_nc_u32_e32 v4, v4, v2
	s_delay_alu instid0(VALU_DEP_2) | instskip(SKIP_1) | instid1(SALU_CYCLE_1)
	v_cmp_ge_i32_e32 vcc_lo, v3, v0
	s_or_b32 s1, vcc_lo, s1
	s_and_not1_b32 exec_lo, exec_lo, s1
	s_cbranch_execz .LBB3_9
.LBB3_5:                                ; =>This Inner Loop Header: Depth=1
	ds_load_b32 v5, v4
	s_mov_b32 s3, exec_lo
	s_waitcnt lgkmcnt(0)
	v_and_b32_e32 v5, 0x1000000, v5
	s_delay_alu instid0(VALU_DEP_1)
	v_cmpx_ne_u32_e32 0, v5
	s_cbranch_execz .LBB3_4
; %bb.6:                                ;   in Loop: Header=BB3_5 Depth=1
	ds_load_b64 v[5:6], v4 offset:104
	s_waitcnt lgkmcnt(0)
	flat_load_u16 v5, v[5:6]
	s_waitcnt vmcnt(0) lgkmcnt(0)
	v_dual_mov_b32 v6, s2 :: v_dual_and_b32 v5, 0xffff, v5
	ds_store_b64 v4, v[5:6] offset:104
	s_branch .LBB3_4
.LBB3_7:
	s_trap 2
	s_sendmsg_rtn_b32 s0, sendmsg(MSG_RTN_GET_DOORBELL)
	s_mov_b32 ttmp2, m0
	s_waitcnt lgkmcnt(0)
	s_and_b32 s0, s0, 0x3ff
	s_delay_alu instid0(SALU_CYCLE_1) | instskip(NEXT) | instid1(SALU_CYCLE_1)
	s_bitset1_b32 s0, 10
	s_mov_b32 m0, s0
	s_sendmsg sendmsg(MSG_INTERRUPT)
	s_mov_b32 m0, ttmp2
.LBB3_8:                                ; =>This Inner Loop Header: Depth=1
	s_sethalt 5
	s_branch .LBB3_8
.LBB3_9:
	s_or_b32 exec_lo, exec_lo, s0
	s_waitcnt lgkmcnt(0)
	s_waitcnt_vscnt null, 0x0
	s_barrier
	buffer_gl0_inv
	s_cbranch_execnz .LBB3_22
; %bb.10:
	ds_load_b32 v0, v0
	s_waitcnt lgkmcnt(0)
	v_cmp_gt_i32_e32 vcc_lo, 1, v0
	s_cbranch_vccnz .LBB3_21
; %bb.11:
	s_mov_b32 s36, 0
	s_mov_b64 s[34:35], src_shared_base
.LBB3_12:                               ; =>This Inner Loop Header: Depth=1
	s_cbranch_execnz .LBB3_26
; %bb.13:                               ;   in Loop: Header=BB3_12 Depth=1
	ds_load_b32 v0, v0
	s_cmp_eq_u32 s36, 0
	s_cbranch_scc1 .LBB3_17
; %bb.14:                               ;   in Loop: Header=BB3_12 Depth=1
	s_cbranch_execnz .LBB3_30
; %bb.15:                               ;   in Loop: Header=BB3_12 Depth=1
	s_waitcnt lgkmcnt(0)
	ds_load_b32 v1, v0
	s_waitcnt lgkmcnt(0)
	v_xor_b32_e32 v1, v1, v0
	s_delay_alu instid0(VALU_DEP_1) | instskip(NEXT) | instid1(VALU_DEP_1)
	v_and_b32_e32 v1, 0xff0000, v1
	v_cmp_eq_u32_e32 vcc_lo, 0, v1
	s_cbranch_vccnz .LBB3_17
; %bb.16:                               ;   in Loop: Header=BB3_12 Depth=1
	s_waitcnt_vscnt null, 0x0
	s_barrier
	buffer_gl0_inv
	ds_load_b32 v0, v0
.LBB3_17:                               ;   in Loop: Header=BB3_12 Depth=1
	s_waitcnt lgkmcnt(0)
	v_lshrrev_b32_e32 v0, 11, v0
	s_mov_b32 s37, exec_lo
	s_delay_alu instid0(VALU_DEP_1) | instskip(NEXT) | instid1(VALU_DEP_1)
	v_and_b32_e32 v1, 0x1fe0, v0
	v_cmpx_lt_u32_e64 v179, v1
	s_cbranch_execz .LBB3_19
; %bb.18:                               ;   in Loop: Header=BB3_12 Depth=1
	v_dual_mov_b32 v0, v179 :: v_dual_mov_b32 v3, s35
	s_getpc_b64 s[0:1]
	s_add_u32 s0, s0, _ZN12_GLOBAL__N_17runRingI12hip_bfloat1613FuncPreMulSumIS1_E7ProtoLLLi0ELi2ELi0EEEviiP15ncclDevWorkColl@rel32@lo+4
	s_addc_u32 s1, s1, _ZN12_GLOBAL__N_17runRingI12hip_bfloat1613FuncPreMulSumIS1_E7ProtoLLLi0ELi2ELi0EEEviiP15ncclDevWorkColl@rel32@hi+12
	s_mov_b64 s[28:29], s[8:9]
	s_mov_b32 s34, s12
	s_swappc_b64 s[30:31], s[0:1]
	s_mov_b32 s12, s34
	s_mov_b64 s[8:9], s[28:29]
.LBB3_19:                               ;   in Loop: Header=BB3_12 Depth=1
	s_or_b32 exec_lo, exec_lo, s37
	s_cbranch_execnz .LBB3_28
; %bb.20:                               ;   in Loop: Header=BB3_12 Depth=1
	ds_load_b32 v0, v0
	s_add_i32 s36, s36, 1
	s_waitcnt lgkmcnt(0)
	v_cmp_lt_i32_e32 vcc_lo, s36, v0
	s_cbranch_vccnz .LBB3_12
.LBB3_21:
	v_readlane_b32 s30, v40, 4
	v_readlane_b32 s31, v40, 5
	v_readlane_b32 s37, v40, 3
	v_readlane_b32 s36, v40, 2
	v_readlane_b32 s35, v40, 1
	v_readlane_b32 s34, v40, 0
	v_readlane_b32 s0, v40, 6
	s_or_saveexec_b32 s1, -1
	scratch_load_b32 v40, off, s33          ; 4-byte Folded Reload
	s_mov_b32 exec_lo, s1
	s_add_i32 s32, s32, -16
	s_mov_b32 s33, s0
	s_waitcnt vmcnt(0)
	s_setpc_b64 s[30:31]
.LBB3_22:
	s_trap 2
	s_sendmsg_rtn_b32 s0, sendmsg(MSG_RTN_GET_DOORBELL)
	s_mov_b32 ttmp2, m0
	s_waitcnt lgkmcnt(0)
	s_and_b32 s0, s0, 0x3ff
	s_delay_alu instid0(SALU_CYCLE_1) | instskip(NEXT) | instid1(SALU_CYCLE_1)
	s_bitset1_b32 s0, 10
	s_mov_b32 m0, s0
	s_sendmsg sendmsg(MSG_INTERRUPT)
	s_mov_b32 m0, ttmp2
.LBB3_23:                               ; =>This Inner Loop Header: Depth=1
	s_sethalt 5
	s_branch .LBB3_23
.LBB3_24:
	s_trap 2
	s_sendmsg_rtn_b32 s0, sendmsg(MSG_RTN_GET_DOORBELL)
	s_mov_b32 ttmp2, m0
	s_waitcnt lgkmcnt(0)
	s_and_b32 s0, s0, 0x3ff
	s_delay_alu instid0(SALU_CYCLE_1) | instskip(NEXT) | instid1(SALU_CYCLE_1)
	s_bitset1_b32 s0, 10
	s_mov_b32 m0, s0
	s_sendmsg sendmsg(MSG_INTERRUPT)
	s_mov_b32 m0, ttmp2
.LBB3_25:                               ; =>This Inner Loop Header: Depth=1
	s_sethalt 5
	s_branch .LBB3_25
.LBB3_26:
	s_trap 2
	s_sendmsg_rtn_b32 s0, sendmsg(MSG_RTN_GET_DOORBELL)
	s_mov_b32 ttmp2, m0
	s_waitcnt lgkmcnt(0)
	s_and_b32 s0, s0, 0x3ff
	s_delay_alu instid0(SALU_CYCLE_1) | instskip(NEXT) | instid1(SALU_CYCLE_1)
	s_bitset1_b32 s0, 10
	s_mov_b32 m0, s0
	s_sendmsg sendmsg(MSG_INTERRUPT)
	s_mov_b32 m0, ttmp2
.LBB3_27:                               ; =>This Inner Loop Header: Depth=1
	s_sethalt 5
	s_branch .LBB3_27
.LBB3_28:
	s_trap 2
	s_sendmsg_rtn_b32 s0, sendmsg(MSG_RTN_GET_DOORBELL)
	s_mov_b32 ttmp2, m0
	s_waitcnt lgkmcnt(0)
	s_and_b32 s0, s0, 0x3ff
	s_delay_alu instid0(SALU_CYCLE_1) | instskip(NEXT) | instid1(SALU_CYCLE_1)
	s_bitset1_b32 s0, 10
	s_mov_b32 m0, s0
	s_sendmsg sendmsg(MSG_INTERRUPT)
	s_mov_b32 m0, ttmp2
.LBB3_29:                               ; =>This Inner Loop Header: Depth=1
	s_sethalt 5
	s_branch .LBB3_29
.LBB3_30:
	s_trap 2
	s_sendmsg_rtn_b32 s0, sendmsg(MSG_RTN_GET_DOORBELL)
	s_mov_b32 ttmp2, m0
	s_waitcnt lgkmcnt(0)
	s_and_b32 s0, s0, 0x3ff
	s_delay_alu instid0(SALU_CYCLE_1) | instskip(NEXT) | instid1(SALU_CYCLE_1)
	s_bitset1_b32 s0, 10
	s_mov_b32 m0, s0
	s_sendmsg sendmsg(MSG_INTERRUPT)
	s_mov_b32 m0, ttmp2
.LBB3_31:                               ; =>This Inner Loop Header: Depth=1
	s_sethalt 5
	s_branch .LBB3_31
.Lfunc_end3:
	.size	_Z54ncclDevFunc_ReduceScatter_RING_LL_PreMulSum_bf16_0_0_2v, .Lfunc_end3-_Z54ncclDevFunc_ReduceScatter_RING_LL_PreMulSum_bf16_0_0_2v
                                        ; -- End function
	.section	.AMDGPU.csdata,"",@progbits
; Function info:
; codeLenInByte = 992
; NumSgprs: 40
; NumVgprs: 180
; ScratchSize: 16
; MemoryBound: 0
	.text
	.p2align	2                               ; -- Begin function _ZN12_GLOBAL__N_17runRingI12hip_bfloat1613FuncPreMulSumIS1_E7ProtoLLLi0ELi4ELi0EEEviiP15ncclDevWorkColl
	.type	_ZN12_GLOBAL__N_17runRingI12hip_bfloat1613FuncPreMulSumIS1_E7ProtoLLLi0ELi4ELi0EEEviiP15ncclDevWorkColl,@function
_ZN12_GLOBAL__N_17runRingI12hip_bfloat1613FuncPreMulSumIS1_E7ProtoLLLi0ELi4ELi0EEEviiP15ncclDevWorkColl: ; @_ZN12_GLOBAL__N_17runRingI12hip_bfloat1613FuncPreMulSumIS1_E7ProtoLLLi0ELi4ELi0EEEviiP15ncclDevWorkColl
; %bb.0:
	s_waitcnt vmcnt(0) expcnt(0) lgkmcnt(0)
	s_cbranch_execnz .LBB4_15
; %bb.1:
	v_mov_b32_e32 v4, v0
	s_clause 0x2
	flat_load_b32 v0, v[2:3]
	flat_load_b128 v[5:8], v[2:3] offset:72
	flat_load_b64 v[19:20], v[2:3] offset:88
	s_mov_b32 s0, exec_lo
                                        ; implicit-def: $vgpr17_vgpr18
                                        ; implicit-def: $vgpr25_vgpr26
	s_waitcnt vmcnt(2) lgkmcnt(2)
	v_and_b32_e32 v12, 0xff, v0
	v_bfe_u32 v11, v0, 8, 8
	ds_load_b32 v10, v0
	v_not_b32_e32 v9, v12
	s_delay_alu instid0(VALU_DEP_1)
	v_add_nc_u32_e32 v0, v11, v9
	ds_load_b64 v[23:24], v0
	v_ashrrev_i32_e32 v13, 31, v0
	s_waitcnt vmcnt(1) lgkmcnt(3)
	v_mul_lo_u32 v14, v8, v0
	v_mad_u64_u32 v[54:55], null, v7, v0, 0
	s_delay_alu instid0(VALU_DEP_3) | instskip(SKIP_2) | instid1(VALU_DEP_2)
	v_mul_lo_u32 v0, v7, v13
	s_waitcnt lgkmcnt(1)
	v_readfirstlane_b32 s14, v10
	v_add3_u32 v0, v55, v0, v14
	v_cmpx_ne_u32_e64 v12, v10
	s_xor_b32 s0, exec_lo, s0
	s_cbranch_execz .LBB4_7
; %bb.2:
	s_mov_b32 s1, exec_lo
                                        ; implicit-def: $vgpr17_vgpr18
                                        ; implicit-def: $vgpr25_vgpr26
	v_cmpx_ne_u32_e64 v11, v10
	s_xor_b32 s1, exec_lo, s1
	s_cbranch_execz .LBB4_4
; %bb.3:
	flat_load_b64 v[11:12], v[2:3] offset:96
	v_add_nc_u32_e32 v9, v10, v9
	s_delay_alu instid0(VALU_DEP_1) | instskip(SKIP_2) | instid1(VALU_DEP_3)
	v_ashrrev_i32_e32 v10, 31, v9
	v_mul_lo_u32 v13, v8, v9
	v_mad_u64_u32 v[25:26], null, v7, v9, v[5:6]
	v_mul_lo_u32 v10, v7, v10
	s_delay_alu instid0(VALU_DEP_1)
	v_add3_u32 v26, v13, v26, v10
	s_waitcnt vmcnt(0) lgkmcnt(0)
	v_lshrrev_b64 v[17:18], 18, v[11:12]
.LBB4_4:
	s_and_not1_saveexec_b32 s1, s1
	s_cbranch_execz .LBB4_6
; %bb.5:
	flat_load_b32 v7, v[2:3] offset:100
	v_add_co_u32 v25, vcc_lo, v54, v5
	v_add_co_ci_u32_e32 v26, vcc_lo, v0, v6, vcc_lo
	s_waitcnt vmcnt(0) lgkmcnt(0)
	v_lshrrev_b32_e32 v17, 7, v7
	v_dual_mov_b32 v7, v19 :: v_dual_mov_b32 v8, v20
.LBB4_6:
	s_or_b32 exec_lo, exec_lo, s1
.LBB4_7:
	s_and_not1_saveexec_b32 s0, s0
	s_cbranch_execz .LBB4_9
; %bb.8:
	flat_load_b64 v[7:8], v[2:3] offset:96
	v_mov_b32_e32 v25, 0
	v_mov_b32_e32 v26, 0
	s_waitcnt vmcnt(0) lgkmcnt(0)
	v_lshlrev_b64 v[17:18], 3, v[7:8]
	v_dual_mov_b32 v8, v6 :: v_dual_mov_b32 v7, v5
.LBB4_9:
	s_or_b32 exec_lo, exec_lo, s0
	s_load_b32 s0, s[8:9], 0x0
	v_mov_b32_e32 v15, 0
	flat_load_b64 v[66:67], v[2:3] offset:104
	s_mov_b32 s2, 0
	s_waitcnt lgkmcnt(0)
	s_cmp_lt_u32 s12, s0
	s_cselect_b32 s0, 12, 18
	s_delay_alu instid0(SALU_CYCLE_1)
	s_add_u32 s0, s8, s0
	s_addc_u32 s1, s9, 0
	s_clause 0x2
	flat_load_b128 v[9:12], v[2:3] offset:16
	flat_load_u16 v14, v[2:3] offset:8
	flat_load_b32 v13, v[2:3] offset:4
	global_load_u16 v18, v15, s[0:1]
	s_cbranch_execnz .LBB4_17
; %bb.10:
	ds_load_b32 v2, v0
	s_waitcnt vmcnt(1) lgkmcnt(1)
	v_lshrrev_b64 v[13:14], 31, v[13:14]
	s_delay_alu instid0(VALU_DEP_1)
	v_and_b32_e32 v14, 3, v13
	v_and_b32_e32 v13, 31, v4
	s_waitcnt lgkmcnt(0)
	v_cmp_gt_i32_e32 vcc_lo, 0, v2
	v_readfirstlane_b32 s1, v2
	s_cbranch_vccnz .LBB4_19
; %bb.11:
	v_cmp_eq_u32_e32 vcc_lo, 0, v13
	s_cbranch_execnz .LBB4_23
; %bb.12:
	ds_load_b64 v[15:16], v0
	v_mov_b32_e32 v3, 0
	v_and_b32_e32 v21, 0xffff, v14
	s_mov_b32 s2, 1
	s_delay_alu instid0(VALU_DEP_2) | instskip(SKIP_1) | instid1(VALU_DEP_1)
	v_lshlrev_b64 v[2:3], 3, v[2:3]
	s_waitcnt lgkmcnt(0)
	v_add_co_u32 v2, s0, v15, v2
	s_delay_alu instid0(VALU_DEP_1)
	v_add_co_ci_u32_e64 v3, s0, v16, v3, s0
	flat_load_b64 v[2:3], v[2:3]
	s_waitcnt vmcnt(0) lgkmcnt(0)
	v_mad_u64_u32 v[15:16], null, 0xa8, v21, v[2:3]
	s_clause 0x1
	flat_load_b64 v[29:30], v[15:16] offset:504
	flat_load_b64 v[32:33], v[15:16] offset:608
	v_add_co_u32 v2, s0, 0x1f8, v15
	s_delay_alu instid0(VALU_DEP_1) | instskip(NEXT) | instid1(VALU_DEP_1)
	v_add_co_ci_u32_e64 v3, s0, 0, v16, s0
	v_dual_cndmask_b32 v27, 0, v2 :: v_dual_cndmask_b32 v28, 0, v3
	s_cbranch_execz .LBB4_20
.LBB4_13:
	s_trap 2
	s_sendmsg_rtn_b32 s0, sendmsg(MSG_RTN_GET_DOORBELL)
	s_mov_b32 ttmp2, m0
	s_waitcnt lgkmcnt(0)
	s_and_b32 s0, s0, 0x3ff
	s_delay_alu instid0(SALU_CYCLE_1) | instskip(NEXT) | instid1(SALU_CYCLE_1)
	s_bitset1_b32 s0, 10
	s_mov_b32 m0, s0
	s_sendmsg sendmsg(MSG_INTERRUPT)
	s_mov_b32 m0, ttmp2
.LBB4_14:                               ; =>This Inner Loop Header: Depth=1
	s_sethalt 5
	s_branch .LBB4_14
.LBB4_15:
	s_trap 2
	s_sendmsg_rtn_b32 s0, sendmsg(MSG_RTN_GET_DOORBELL)
	s_mov_b32 ttmp2, m0
	s_waitcnt lgkmcnt(0)
	s_and_b32 s0, s0, 0x3ff
	s_delay_alu instid0(SALU_CYCLE_1) | instskip(NEXT) | instid1(SALU_CYCLE_1)
	s_bitset1_b32 s0, 10
	s_mov_b32 m0, s0
	s_sendmsg sendmsg(MSG_INTERRUPT)
	s_mov_b32 m0, ttmp2
.LBB4_16:                               ; =>This Inner Loop Header: Depth=1
	s_sethalt 5
	s_branch .LBB4_16
.LBB4_17:
	s_trap 2
	s_sendmsg_rtn_b32 s0, sendmsg(MSG_RTN_GET_DOORBELL)
	s_mov_b32 ttmp2, m0
	s_waitcnt lgkmcnt(0)
	s_and_b32 s0, s0, 0x3ff
	s_delay_alu instid0(SALU_CYCLE_1) | instskip(NEXT) | instid1(SALU_CYCLE_1)
	s_bitset1_b32 s0, 10
	s_mov_b32 m0, s0
	s_sendmsg sendmsg(MSG_INTERRUPT)
	s_mov_b32 m0, ttmp2
.LBB4_18:                               ; =>This Inner Loop Header: Depth=1
	s_sethalt 5
	s_branch .LBB4_18
.LBB4_19:
	v_mov_b32_e32 v27, 0
	v_mov_b32_e32 v28, 0
                                        ; implicit-def: $vgpr32_vgpr33
                                        ; implicit-def: $vgpr29_vgpr30
	s_cbranch_execnz .LBB4_13
.LBB4_20:
	ds_load_b32 v2, v0
	v_mov_b32_e32 v36, 0
	v_mov_b32_e32 v37, 0
	s_waitcnt lgkmcnt(0)
	v_cmp_gt_i32_e32 vcc_lo, 0, v2
	s_cbranch_vccnz .LBB4_25
; %bb.21:
	s_cbranch_execnz .LBB4_325
; %bb.22:
	ds_load_b64 v[15:16], v0
	v_mov_b32_e32 v3, 0
	s_delay_alu instid0(VALU_DEP_1) | instskip(SKIP_1) | instid1(VALU_DEP_1)
	v_lshlrev_b64 v[2:3], 3, v[2:3]
	s_waitcnt lgkmcnt(0)
	v_add_co_u32 v2, vcc_lo, v15, v2
	s_delay_alu instid0(VALU_DEP_2)
	v_add_co_ci_u32_e32 v3, vcc_lo, v16, v3, vcc_lo
	v_and_b32_e32 v16, 0xffff, v14
	v_cmp_eq_u32_e32 vcc_lo, 0, v13
	flat_load_b64 v[2:3], v[2:3]
	s_waitcnt vmcnt(0) lgkmcnt(0)
	v_mad_u64_u32 v[14:15], null, 0xa8, v16, v[2:3]
	s_clause 0x1
	flat_load_b64 v[38:39], v[14:15]
	flat_load_b64 v[21:22], v[14:15] offset:104
	v_dual_cndmask_b32 v35, 0, v15 :: v_dual_cndmask_b32 v34, 0, v14
	s_branch .LBB4_26
.LBB4_23:
	s_trap 2
	s_sendmsg_rtn_b32 s0, sendmsg(MSG_RTN_GET_DOORBELL)
	s_mov_b32 ttmp2, m0
	s_waitcnt lgkmcnt(0)
	s_and_b32 s0, s0, 0x3ff
	s_delay_alu instid0(SALU_CYCLE_1) | instskip(NEXT) | instid1(SALU_CYCLE_1)
	s_bitset1_b32 s0, 10
	s_mov_b32 m0, s0
	s_sendmsg sendmsg(MSG_INTERRUPT)
	s_mov_b32 m0, ttmp2
.LBB4_24:                               ; =>This Inner Loop Header: Depth=1
	s_sethalt 5
	s_branch .LBB4_24
.LBB4_25:
	s_delay_alu instid0(VALU_DEP_2)
	v_dual_mov_b32 v34, v36 :: v_dual_mov_b32 v35, v37
                                        ; implicit-def: $vgpr21_vgpr22
                                        ; implicit-def: $vgpr38_vgpr39
.LBB4_26:
	v_subrev_nc_u32_e32 v2, 32, v1
	v_cmp_gt_u32_e64 s0, s2, v13
                                        ; implicit-def: $vgpr48_vgpr49
	s_delay_alu instid0(VALU_DEP_2) | instskip(NEXT) | instid1(VALU_DEP_2)
	v_cmp_le_i32_e32 vcc_lo, v2, v4
	s_and_b32 s11, vcc_lo, s0
	s_delay_alu instid0(SALU_CYCLE_1)
	s_and_saveexec_b32 s0, s11
; %bb.27:
	s_clause 0x1
	flat_load_b64 v[36:37], v[27:28] offset:56
	flat_load_b64 v[48:49], v[27:28] offset:104
; %bb.28:
	s_or_b32 exec_lo, exec_lo, s0
	v_mov_b32_e32 v2, 0
	v_mov_b32_e32 v3, 0
	v_cmp_gt_i32_e64 s0, s2, v4
                                        ; implicit-def: $vgpr52_vgpr53
	s_delay_alu instid0(VALU_DEP_2) | instskip(SKIP_1) | instid1(VALU_DEP_3)
	v_dual_mov_b32 v14, v3 :: v_dual_mov_b32 v13, v2
	v_dual_mov_b32 v51, v3 :: v_dual_mov_b32 v50, v2
	s_and_saveexec_b32 s2, s0
	s_cbranch_execz .LBB4_30
; %bb.29:
	flat_load_b64 v[50:51], v[34:35] offset:56
	s_waitcnt vmcnt(0) lgkmcnt(0)
	flat_load_b64 v[52:53], v[50:51] glc dlc
	s_waitcnt vmcnt(0)
	flat_load_b128 v[13:16], v[34:35] offset:96
.LBB4_30:
	s_or_b32 exec_lo, exec_lo, s2
	s_waitcnt vmcnt(0)
	v_and_b32_e32 v116, 0xffff, v18
	s_mov_b32 s12, exec_lo
	v_cmpx_ne_u64_e32 0, v[7:8]
	s_cbranch_execz .LBB4_313
; %bb.31:
	v_dual_mov_b32 v55, 0 :: v_dual_and_b32 v64, 0xfffff8, v17
	v_add_co_u32 v2, vcc_lo, v19, v5
	s_ashr_i32 s2, s1, 31
	s_delay_alu instid0(VALU_DEP_2)
	v_dual_mov_b32 v65, v55 :: v_dual_lshlrev_b32 v70, 2, v4
	v_add_co_ci_u32_e32 v3, vcc_lo, v20, v6, vcc_lo
	s_lshr_b32 s2, s2, 29
	s_ashr_i32 s15, s14, 31
	v_lshlrev_b32_e32 v117, 16, v66
	v_add_co_u32 v66, vcc_lo, v2, v54
	v_ashrrev_i32_e32 v71, 31, v70
	s_add_i32 s1, s1, s2
	s_lshl_b64 s[2:3], s[14:15], 2
	v_ashrrev_i32_e32 v2, 31, v1
	v_add_co_ci_u32_e32 v67, vcc_lo, v3, v0, vcc_lo
	v_add_co_u32 v0, vcc_lo, v23, s2
	v_add_co_ci_u32_e32 v3, vcc_lo, s3, v24, vcc_lo
	v_lshlrev_b64 v[82:83], 1, v[70:71]
	v_lshrrev_b32_e32 v5, 27, v2
	s_delay_alu instid0(VALU_DEP_4) | instskip(NEXT) | instid1(VALU_DEP_4)
	v_add_co_u32 v68, vcc_lo, v0, -4
	v_add_co_ci_u32_e32 v69, vcc_lo, -1, v3, vcc_lo
	s_delay_alu instid0(VALU_DEP_3)
	v_add_nc_u32_e32 v0, v1, v5
	v_add_co_u32 v119, vcc_lo, v11, v82
	v_lshlrev_b64 v[5:6], 1, v[25:26]
	v_dual_mov_b32 v144, 1 :: v_dual_and_b32 v3, 31, v31
	v_add_co_ci_u32_e32 v128, vcc_lo, v12, v83, vcc_lo
	v_add_co_u32 v129, vcc_lo, v9, v82
	v_add_co_ci_u32_e32 v130, vcc_lo, v10, v83, vcc_lo
	v_ashrrev_i32_e32 v118, 5, v0
	v_cmp_eq_u32_e64 s5, 0, v3
	v_and_b32_e32 v54, 1, v9
	v_lshlrev_b32_e32 v0, 1, v17
	v_lshlrev_b32_e32 v3, 1, v25
	v_add_co_u32 v9, vcc_lo, v119, v5
	v_ashrrev_i32_e32 v5, 31, v4
	v_dual_mov_b32 v145, 0 :: v_dual_lshlrev_b32 v80, 2, v1
	v_and_b32_e32 v131, 0x1fffff0, v0
	v_lshl_add_u32 v0, v4, 3, v3
	v_lshlrev_b32_e32 v3, 4, v17
	v_lshlrev_b64 v[17:18], 4, v[4:5]
	v_ashrrev_i32_e32 v81, 31, v80
	v_add_co_ci_u32_e32 v10, vcc_lo, v128, v6, vcc_lo
	v_mov_b32_e32 v5, 0
	v_mov_b32_e32 v6, 0
	s_ashr_i32 s4, s1, 3
	v_lshlrev_b64 v[86:87], 1, v[80:81]
	v_and_b32_e32 v81, 0xfffff80, v3
	s_waitcnt lgkmcnt(1)
	v_add_co_u32 v134, vcc_lo, v38, v17
	v_lshlrev_b64 v[96:97], 4, v[1:2]
	v_mov_b32_e32 v2, v5
	s_ashr_i32 s13, s1, 7
	v_cmp_ne_u64_e64 s1, 0, v[50:51]
	s_waitcnt lgkmcnt(0)
	v_cmp_ne_u64_e64 s2, 0, v[13:14]
	v_cmp_ne_u64_e64 s6, 0, v[36:37]
	v_lshlrev_b64 v[84:85], 1, v[66:67]
	v_mov_b32_e32 v3, v6
	v_cmp_eq_u64_e64 s7, 0, v[54:55]
	s_and_b32 s15, s4, -16
	v_cmp_ne_u32_e64 s3, 32, v1
	v_cmp_ne_u32_e64 s4, v116, v1
	v_ashrrev_i32_e32 v71, 31, v118
	v_add_lshl_u32 v0, v0, v11, 3
	v_lshlrev_b32_e32 v132, 4, v66
	v_lshlrev_b32_e32 v133, 6, v1
	v_add_co_ci_u32_e32 v135, vcc_lo, v39, v18, vcc_lo
	s_cmp_gt_i32 s14, 2
	s_mov_b32 s16, 0
	s_cselect_b32 s17, -1, 0
.LBB4_32:                               ; =>This Loop Header: Depth=1
                                        ;     Child Loop BB4_39 Depth 2
                                        ;     Child Loop BB4_59 Depth 2
	;; [unrolled: 1-line block ×5, first 2 shown]
                                        ;       Child Loop BB4_108 Depth 3
                                        ;       Child Loop BB4_128 Depth 3
	;; [unrolled: 1-line block ×3, first 2 shown]
                                        ;         Child Loop BB4_152 Depth 4
                                        ;       Child Loop BB4_204 Depth 3
                                        ;       Child Loop BB4_221 Depth 3
                                        ;     Child Loop BB4_226 Depth 2
                                        ;       Child Loop BB4_234 Depth 3
                                        ;     Child Loop BB4_296 Depth 2
	s_waitcnt vmcnt(0) lgkmcnt(0)
	flat_load_b32 v19, v[68:69]
	v_sub_co_u32 v17, vcc_lo, v7, v5
	v_sub_co_ci_u32_e32 v18, vcc_lo, v8, v6, vcc_lo
	s_delay_alu instid0(VALU_DEP_1) | instskip(SKIP_1) | instid1(VALU_DEP_1)
	v_cmp_lt_u64_e32 vcc_lo, v[64:65], v[17:18]
	v_cndmask_b32_e32 v20, v17, v64, vcc_lo
	v_lshl_add_u32 v17, v20, 2, 12
	s_delay_alu instid0(VALU_DEP_1)
	v_and_b32_e32 v147, 0x7fffff0, v17
	s_and_saveexec_b32 s8, s1
	s_cbranch_execz .LBB4_50
; %bb.33:                               ;   in Loop: Header=BB4_32 Depth=1
	v_add_co_u32 v17, vcc_lo, v15, 1
	v_add_co_ci_u32_e32 v18, vcc_lo, 0, v16, vcc_lo
	v_add_co_u32 v98, vcc_lo, v52, 8
	v_add_co_ci_u32_e32 v99, vcc_lo, 0, v53, vcc_lo
	s_mov_b32 s9, exec_lo
	s_delay_alu instid0(VALU_DEP_1)
	v_cmpx_lt_u64_e64 v[98:99], v[17:18]
	s_cbranch_execz .LBB4_47
; %bb.34:                               ;   in Loop: Header=BB4_32 Depth=1
	s_sleep 1
	flat_load_b64 v[52:53], v[50:51] glc
	v_cmp_eq_u32_e32 vcc_lo, 0, v145
	s_and_saveexec_b32 s10, vcc_lo
	s_cbranch_execz .LBB4_46
; %bb.35:                               ;   in Loop: Header=BB4_32 Depth=1
	v_cndmask_b32_e64 v16, 0, 1, vcc_lo
	s_mov_b32 s18, 0
                                        ; implicit-def: $sgpr19
	s_branch .LBB4_39
.LBB4_36:                               ;   in Loop: Header=BB4_39 Depth=2
	s_or_b32 exec_lo, exec_lo, s22
	s_delay_alu instid0(SALU_CYCLE_1)
	s_or_not1_b32 s22, s23, exec_lo
.LBB4_37:                               ;   in Loop: Header=BB4_39 Depth=2
	s_or_b32 exec_lo, exec_lo, s21
	s_xor_b32 s21, s22, -1
	s_and_not1_b32 s19, s19, exec_lo
	s_and_b32 s21, s21, exec_lo
	s_delay_alu instid0(SALU_CYCLE_1)
	s_or_b32 s19, s19, s21
.LBB4_38:                               ;   in Loop: Header=BB4_39 Depth=2
	s_or_b32 exec_lo, exec_lo, s20
	s_delay_alu instid0(SALU_CYCLE_1) | instskip(NEXT) | instid1(SALU_CYCLE_1)
	s_and_b32 s20, exec_lo, s19
	s_or_b32 s18, s20, s18
	s_delay_alu instid0(SALU_CYCLE_1)
	s_and_not1_b32 exec_lo, exec_lo, s18
	s_cbranch_execz .LBB4_45
.LBB4_39:                               ;   Parent Loop BB4_32 Depth=1
                                        ; =>  This Inner Loop Header: Depth=2
	s_waitcnt vmcnt(0) lgkmcnt(0)
	v_add_co_u32 v98, vcc_lo, v52, 8
	v_add_co_ci_u32_e32 v99, vcc_lo, 0, v53, vcc_lo
	v_mov_b32_e32 v145, 0
	s_or_b32 s19, s19, exec_lo
	s_mov_b32 s20, exec_lo
	s_delay_alu instid0(VALU_DEP_2)
	v_cmpx_lt_u64_e64 v[98:99], v[17:18]
	s_cbranch_execz .LBB4_38
; %bb.40:                               ;   in Loop: Header=BB4_39 Depth=2
	s_sleep 1
	flat_load_b64 v[52:53], v[50:51] glc
	v_dual_mov_b32 v145, 0 :: v_dual_add_nc_u32 v16, 1, v16
	s_mov_b32 s22, -1
	s_mov_b32 s21, exec_lo
	s_delay_alu instid0(VALU_DEP_1)
	v_cmpx_eq_u32_e32 0x2710, v16
	s_cbranch_execz .LBB4_37
; %bb.41:                               ;   in Loop: Header=BB4_39 Depth=2
	s_cbranch_execnz .LBB4_331
; %bb.42:                               ;   in Loop: Header=BB4_39 Depth=2
	ds_load_b64 v[98:99], v0
	v_dual_mov_b32 v16, 0 :: v_dual_mov_b32 v145, 0
	s_mov_b32 s23, -1
	s_mov_b32 s22, exec_lo
	s_waitcnt vmcnt(0) lgkmcnt(0)
	s_waitcnt_vscnt null, 0x0
	flat_load_b32 v54, v[98:99] glc
	s_waitcnt vmcnt(0) lgkmcnt(0)
	buffer_gl1_inv
	buffer_gl0_inv
	v_cmpx_ne_u32_e32 0, v54
	s_cbranch_execz .LBB4_36
; %bb.43:                               ;   in Loop: Header=BB4_39 Depth=2
	ds_store_b32 v0, v54
	s_cbranch_execnz .LBB4_356
; %bb.44:                               ;   in Loop: Header=BB4_39 Depth=2
	v_mov_b32_e32 v145, 1
	s_xor_b32 s23, exec_lo, -1
	s_branch .LBB4_36
.LBB4_45:                               ;   in Loop: Header=BB4_32 Depth=1
	s_or_b32 exec_lo, exec_lo, s18
.LBB4_46:                               ;   in Loop: Header=BB4_32 Depth=1
	s_delay_alu instid0(SALU_CYCLE_1)
	s_or_b32 exec_lo, exec_lo, s10
.LBB4_47:                               ;   in Loop: Header=BB4_32 Depth=1
	s_delay_alu instid0(SALU_CYCLE_1)
	s_or_b32 exec_lo, exec_lo, s9
	s_and_saveexec_b32 s9, s2
	s_cbranch_execz .LBB4_49
; %bb.48:                               ;   in Loop: Header=BB4_32 Depth=1
	v_and_b32_e32 v54, 0x7ffffff8, v15
	v_and_b32_e32 v16, 7, v15
	s_delay_alu instid0(VALU_DEP_2) | instskip(NEXT) | instid1(VALU_DEP_2)
	v_cmp_eq_u64_e32 vcc_lo, 0x7ffffff8, v[54:55]
	v_mad_u64_u32 v[98:99], null, v16, 24, v[13:14]
	v_cndmask_b32_e64 v15, v147, s15, vcc_lo
	s_delay_alu instid0(VALU_DEP_1)
	v_ashrrev_i32_e32 v16, 31, v15
	flat_store_b64 v[98:99], v[15:16] offset:8 dlc
	s_waitcnt_vscnt null, 0x0
.LBB4_49:                               ;   in Loop: Header=BB4_32 Depth=1
	s_or_b32 exec_lo, exec_lo, s9
	v_dual_mov_b32 v15, v17 :: v_dual_mov_b32 v16, v18
.LBB4_50:                               ;   in Loop: Header=BB4_32 Depth=1
	s_or_b32 exec_lo, exec_lo, s8
	s_and_saveexec_b32 s8, s3
	s_cbranch_execz .LBB4_72
; %bb.51:                               ;   in Loop: Header=BB4_32 Depth=1
	s_and_saveexec_b32 s9, s4
	s_delay_alu instid0(SALU_CYCLE_1)
	s_xor_b32 s9, exec_lo, s9
	s_cbranch_execz .LBB4_69
; %bb.52:                               ;   in Loop: Header=BB4_32 Depth=1
	s_and_saveexec_b32 s10, s5
	s_cbranch_execz .LBB4_68
; %bb.53:                               ;   in Loop: Header=BB4_32 Depth=1
	s_mov_b32 s19, exec_lo
	s_mov_b32 s18, exec_lo
	v_mbcnt_lo_u32_b32 v17, s19, 0
	s_waitcnt vmcnt(0) lgkmcnt(0)
	s_waitcnt_vscnt null, 0x0
	buffer_gl1_inv
	buffer_gl0_inv
	v_cmpx_eq_u32_e32 0, v17
	s_cbranch_execz .LBB4_55
; %bb.54:                               ;   in Loop: Header=BB4_32 Depth=1
	s_bcnt1_i32_b32 s19, s19
	s_delay_alu instid0(SALU_CYCLE_1)
	v_mov_b32_e32 v54, s19
	ds_add_u64 v0, v[54:55]
	s_cbranch_execnz .LBB4_350
.LBB4_55:                               ;   in Loop: Header=BB4_32 Depth=1
	s_or_b32 exec_lo, exec_lo, s18
	s_cbranch_execnz .LBB4_337
; %bb.56:                               ;   in Loop: Header=BB4_32 Depth=1
	ds_load_b64 v[17:18], v0
	v_add_co_u32 v2, vcc_lo, v2, v118
	v_add_co_ci_u32_e32 v3, vcc_lo, v3, v71, vcc_lo
	s_mov_b32 s18, exec_lo
	s_waitcnt lgkmcnt(0)
	s_delay_alu instid0(VALU_DEP_1)
	v_cmpx_lt_u64_e64 v[17:18], v[2:3]
	s_cbranch_execz .LBB4_67
; %bb.57:                               ;   in Loop: Header=BB4_32 Depth=1
	s_mov_b32 s19, 0
	s_mov_b32 s22, 0
                                        ; implicit-def: $sgpr20
                                        ; implicit-def: $sgpr21
	s_branch .LBB4_59
.LBB4_58:                               ;   in Loop: Header=BB4_59 Depth=2
	s_or_b32 exec_lo, exec_lo, s25
	s_delay_alu instid0(SALU_CYCLE_1) | instskip(NEXT) | instid1(SALU_CYCLE_1)
	s_and_b32 s23, exec_lo, s24
	s_or_b32 s19, s23, s19
	s_and_not1_b32 s20, s20, exec_lo
	s_and_b32 s23, s21, exec_lo
	s_delay_alu instid0(SALU_CYCLE_1)
	s_or_b32 s20, s20, s23
	s_and_not1_b32 exec_lo, exec_lo, s19
	s_cbranch_execz .LBB4_65
.LBB4_59:                               ;   Parent Loop BB4_32 Depth=1
                                        ; =>  This Inner Loop Header: Depth=2
	s_add_i32 s22, s22, 1
                                        ; implicit-def: $sgpr24
	s_delay_alu instid0(SALU_CYCLE_1) | instskip(SKIP_1) | instid1(SALU_CYCLE_1)
	s_cmpk_lg_i32 s22, 0x2710
	s_cselect_b32 s23, -1, 0
	s_and_b32 vcc_lo, exec_lo, s23
	s_cbranch_vccz .LBB4_63
.LBB4_60:                               ;   in Loop: Header=BB4_59 Depth=2
	s_and_not1_b32 s21, s21, exec_lo
	s_and_b32 s25, s24, exec_lo
	s_mov_b32 s24, -1
	s_or_b32 s21, s21, s25
	s_and_saveexec_b32 s25, s23
	s_cbranch_execz .LBB4_58
; %bb.61:                               ;   in Loop: Header=BB4_59 Depth=2
	s_sleep 1
	s_cbranch_execnz .LBB4_364
; %bb.62:                               ;   in Loop: Header=BB4_59 Depth=2
	ds_load_b64 v[17:18], v0
	s_and_not1_b32 s21, s21, exec_lo
	s_waitcnt lgkmcnt(0)
	v_cmp_ge_u64_e32 vcc_lo, v[17:18], v[2:3]
	s_or_not1_b32 s24, vcc_lo, exec_lo
	s_branch .LBB4_58
.LBB4_63:                               ;   in Loop: Header=BB4_59 Depth=2
	s_cbranch_execnz .LBB4_372
; %bb.64:                               ;   in Loop: Header=BB4_59 Depth=2
	ds_load_b64 v[17:18], v0
	s_and_not1_b32 s23, s23, exec_lo
	s_mov_b32 s22, 0
	s_mov_b32 s24, -1
	s_waitcnt lgkmcnt(0)
	flat_load_b32 v17, v[17:18] glc
	s_waitcnt vmcnt(0) lgkmcnt(0)
	buffer_gl1_inv
	buffer_gl0_inv
	v_cmp_eq_u32_e32 vcc_lo, 0, v17
	s_and_b32 s25, vcc_lo, exec_lo
	s_delay_alu instid0(SALU_CYCLE_1)
	s_or_b32 s23, s23, s25
	s_branch .LBB4_60
.LBB4_65:                               ;   in Loop: Header=BB4_32 Depth=1
	s_or_b32 exec_lo, exec_lo, s19
	s_and_saveexec_b32 s19, s20
	s_delay_alu instid0(SALU_CYCLE_1)
	s_xor_b32 s19, exec_lo, s19
	s_cbranch_execz .LBB4_67
; %bb.66:                               ;   in Loop: Header=BB4_32 Depth=1
	ds_store_b32 v0, v144
	s_cbranch_execnz .LBB4_397
.LBB4_67:                               ;   in Loop: Header=BB4_32 Depth=1
	s_or_b32 exec_lo, exec_lo, s18
	;;#ASMSTART
	s_wakeup
	;;#ASMEND
.LBB4_68:                               ;   in Loop: Header=BB4_32 Depth=1
	s_or_b32 exec_lo, exec_lo, s10
.LBB4_69:                               ;   in Loop: Header=BB4_32 Depth=1
	s_and_not1_saveexec_b32 s9, s9
	s_cbranch_execz .LBB4_71
; %bb.70:                               ;   in Loop: Header=BB4_32 Depth=1
	s_waitcnt vmcnt(0) lgkmcnt(0)
	s_waitcnt_vscnt null, 0x0
	buffer_gl1_inv
	buffer_gl0_inv
	s_barrier
.LBB4_71:                               ;   in Loop: Header=BB4_32 Depth=1
	s_or_b32 exec_lo, exec_lo, s9
.LBB4_72:                               ;   in Loop: Header=BB4_32 Depth=1
	s_delay_alu instid0(SALU_CYCLE_1) | instskip(SKIP_2) | instid1(VALU_DEP_2)
	s_or_b32 exec_lo, exec_lo, s8
	v_sub_nc_u32_e32 v146, v20, v70
	v_mov_b32_e32 v98, v4
	v_cmp_lt_i32_e64 s8, 0, v146
	s_delay_alu instid0(VALU_DEP_1)
	s_and_saveexec_b32 s10, s8
	s_cbranch_execz .LBB4_96
; %bb.73:                               ;   in Loop: Header=BB4_32 Depth=1
	v_dual_mov_b32 v98, v21 :: v_dual_and_b32 v17, 7, v21
	s_waitcnt vmcnt(0) lgkmcnt(0)
	v_ashrrev_i32_e32 v20, 31, v19
	v_mad_u64_u32 v[99:100], null, v84, v19, v[9:10]
	s_delay_alu instid0(VALU_DEP_3) | instskip(SKIP_1) | instid1(VALU_DEP_4)
	v_mul_lo_u32 v17, v17, s13
	v_mul_lo_u32 v103, v85, v19
	;; [unrolled: 1-line block ×3, first 2 shown]
	v_mad_u64_u32 v[101:102], null, v132, v19, v[0:1]
	v_add_co_u32 v114, vcc_lo, 0, 0
	v_mov_b32_e32 v54, v146
	v_ashrrev_i32_e32 v18, 31, v17
	s_mov_b32 s18, 0
	v_add3_u32 v100, v103, v100, v112
	s_delay_alu instid0(VALU_DEP_2) | instskip(SKIP_2) | instid1(VALU_DEP_3)
	v_lshlrev_b64 v[19:20], 4, v[17:18]
	v_add_co_ci_u32_e32 v18, vcc_lo, 1, v98, vcc_lo
	v_mov_b32_e32 v98, v4
	v_add_co_u32 v102, vcc_lo, v134, v19
	s_delay_alu instid0(VALU_DEP_4)
	v_add_co_ci_u32_e32 v103, vcc_lo, v135, v20, vcc_lo
	s_branch .LBB4_75
.LBB4_74:                               ;   in Loop: Header=BB4_75 Depth=2
	s_or_b32 exec_lo, exec_lo, s9
	v_and_b32_e32 v19, 0xffff0000, v19
	v_lshrrev_b32_e32 v17, 16, v17
	v_lshrrev_b32_e32 v112, 16, v20
	v_dual_mov_b32 v20, v18 :: v_dual_and_b32 v113, 0xffff0000, v113
	v_sub_nc_u32_e32 v54, v54, v80
	s_delay_alu instid0(VALU_DEP_4) | instskip(SKIP_1) | instid1(VALU_DEP_4)
	v_or3_b32 v17, v19, v17, v114
	v_add_co_u32 v99, vcc_lo, v99, v86
	v_or3_b32 v19, v113, v112, v114
	v_add_co_ci_u32_e32 v100, vcc_lo, v100, v87, vcc_lo
	v_cmp_gt_i32_e32 vcc_lo, 1, v54
	v_add_nc_u32_e32 v98, v98, v1
	global_store_b128 v[102:103], v[17:20], off
	v_add_co_u32 v102, s9, v102, v96
	v_add_nc_u32_e32 v101, v101, v133
	v_add_co_ci_u32_e64 v103, s9, v103, v97, s9
	s_or_b32 s18, vcc_lo, s18
	s_delay_alu instid0(SALU_CYCLE_1)
	s_and_not1_b32 exec_lo, exec_lo, s18
	s_cbranch_execz .LBB4_95
.LBB4_75:                               ;   Parent Loop BB4_32 Depth=1
                                        ; =>  This Inner Loop Header: Depth=2
	v_dual_mov_b32 v20, v100 :: v_dual_and_b32 v19, -4, v99
	v_min_u32_e32 v112, 4, v54
	v_dual_mov_b32 v148, 0 :: v_dual_and_b32 v113, 3, v99
	v_mov_b32_e32 v115, 0
	flat_load_b32 v17, v[19:20] glc
	v_lshlrev_b32_e32 v112, 1, v112
	s_delay_alu instid0(VALU_DEP_1) | instskip(NEXT) | instid1(VALU_DEP_1)
	v_add_co_u32 v112, s9, v113, v112
	v_add_co_ci_u32_e64 v113, null, 0, 0, s9
	s_mov_b32 s9, exec_lo
	s_delay_alu instid0(VALU_DEP_1)
	v_cmpx_lt_u64_e32 4, v[112:113]
	s_cbranch_execz .LBB4_77
; %bb.76:                               ;   in Loop: Header=BB4_75 Depth=2
	flat_load_b32 v148, v[19:20] offset:4 glc
.LBB4_77:                               ;   in Loop: Header=BB4_75 Depth=2
	s_or_b32 exec_lo, exec_lo, s9
	s_delay_alu instid0(SALU_CYCLE_1)
	s_mov_b32 s9, exec_lo
	v_cmpx_lt_u64_e32 8, v[112:113]
	s_cbranch_execz .LBB4_79
; %bb.78:                               ;   in Loop: Header=BB4_75 Depth=2
	flat_load_b32 v115, v[19:20] offset:8 glc
.LBB4_79:                               ;   in Loop: Header=BB4_75 Depth=2
	s_or_b32 exec_lo, exec_lo, s9
	s_waitcnt vmcnt(0) lgkmcnt(0)
	v_alignbit_b32 v19, v148, v17, v101
	s_delay_alu instid0(VALU_DEP_1) | instskip(NEXT) | instid1(VALU_DEP_1)
	v_lshlrev_b32_e32 v17, 16, v19
	v_mul_f32_e32 v20, v117, v17
	s_delay_alu instid0(VALU_DEP_1) | instskip(NEXT) | instid1(VALU_DEP_1)
	v_and_b32_e32 v17, 0x7f800000, v20
	v_cmp_ne_u32_e32 vcc_lo, 0x7f800000, v17
                                        ; implicit-def: $vgpr17
	s_and_saveexec_b32 s9, vcc_lo
	s_delay_alu instid0(SALU_CYCLE_1)
	s_xor_b32 s9, exec_lo, s9
; %bb.80:                               ;   in Loop: Header=BB4_75 Depth=2
	v_bfe_u32 v17, v20, 16, 1
	s_delay_alu instid0(VALU_DEP_1)
	v_add3_u32 v17, v20, v17, 0x7fff
                                        ; implicit-def: $vgpr20
; %bb.81:                               ;   in Loop: Header=BB4_75 Depth=2
	s_and_not1_saveexec_b32 s9, s9
; %bb.82:                               ;   in Loop: Header=BB4_75 Depth=2
	v_and_b32_e32 v17, 0xffff, v20
	v_or_b32_e32 v112, 0x10000, v20
	s_delay_alu instid0(VALU_DEP_2) | instskip(NEXT) | instid1(VALU_DEP_2)
	v_cmp_eq_u32_e32 vcc_lo, 0, v17
	v_cndmask_b32_e32 v17, v112, v20, vcc_lo
; %bb.83:                               ;   in Loop: Header=BB4_75 Depth=2
	s_or_b32 exec_lo, exec_lo, s9
	v_and_b32_e32 v19, 0xffff0000, v19
	s_delay_alu instid0(VALU_DEP_1) | instskip(NEXT) | instid1(VALU_DEP_1)
	v_mul_f32_e32 v20, v117, v19
	v_and_b32_e32 v19, 0x7f800000, v20
	s_delay_alu instid0(VALU_DEP_1) | instskip(SKIP_1) | instid1(SALU_CYCLE_1)
	v_cmp_ne_u32_e32 vcc_lo, 0x7f800000, v19
                                        ; implicit-def: $vgpr19
	s_and_saveexec_b32 s9, vcc_lo
	s_xor_b32 s9, exec_lo, s9
; %bb.84:                               ;   in Loop: Header=BB4_75 Depth=2
	v_bfe_u32 v19, v20, 16, 1
	s_delay_alu instid0(VALU_DEP_1)
	v_add3_u32 v19, v20, v19, 0x7fff
                                        ; implicit-def: $vgpr20
; %bb.85:                               ;   in Loop: Header=BB4_75 Depth=2
	s_and_not1_saveexec_b32 s9, s9
; %bb.86:                               ;   in Loop: Header=BB4_75 Depth=2
	v_and_b32_e32 v19, 0xffff, v20
	v_or_b32_e32 v112, 0x10000, v20
	s_delay_alu instid0(VALU_DEP_2) | instskip(NEXT) | instid1(VALU_DEP_2)
	v_cmp_eq_u32_e32 vcc_lo, 0, v19
	v_cndmask_b32_e32 v19, v112, v20, vcc_lo
; %bb.87:                               ;   in Loop: Header=BB4_75 Depth=2
	s_or_b32 exec_lo, exec_lo, s9
	v_alignbit_b32 v112, v115, v148, v101
	s_delay_alu instid0(VALU_DEP_1) | instskip(NEXT) | instid1(VALU_DEP_1)
	v_lshlrev_b32_e32 v20, 16, v112
	v_mul_f32_e32 v113, v117, v20
	s_delay_alu instid0(VALU_DEP_1) | instskip(NEXT) | instid1(VALU_DEP_1)
	v_and_b32_e32 v20, 0x7f800000, v113
	v_cmp_ne_u32_e32 vcc_lo, 0x7f800000, v20
                                        ; implicit-def: $vgpr20
	s_and_saveexec_b32 s9, vcc_lo
	s_delay_alu instid0(SALU_CYCLE_1)
	s_xor_b32 s9, exec_lo, s9
; %bb.88:                               ;   in Loop: Header=BB4_75 Depth=2
	v_bfe_u32 v20, v113, 16, 1
	s_delay_alu instid0(VALU_DEP_1)
	v_add3_u32 v20, v113, v20, 0x7fff
                                        ; implicit-def: $vgpr113
; %bb.89:                               ;   in Loop: Header=BB4_75 Depth=2
	s_and_not1_saveexec_b32 s9, s9
; %bb.90:                               ;   in Loop: Header=BB4_75 Depth=2
	v_and_b32_e32 v20, 0xffff, v113
	v_or_b32_e32 v115, 0x10000, v113
	s_delay_alu instid0(VALU_DEP_2) | instskip(NEXT) | instid1(VALU_DEP_2)
	v_cmp_eq_u32_e32 vcc_lo, 0, v20
	v_cndmask_b32_e32 v20, v115, v113, vcc_lo
; %bb.91:                               ;   in Loop: Header=BB4_75 Depth=2
	s_or_b32 exec_lo, exec_lo, s9
	v_and_b32_e32 v112, 0xffff0000, v112
	s_delay_alu instid0(VALU_DEP_1) | instskip(NEXT) | instid1(VALU_DEP_1)
	v_mul_f32_e32 v112, v117, v112
	v_and_b32_e32 v113, 0x7f800000, v112
	s_delay_alu instid0(VALU_DEP_1) | instskip(SKIP_1) | instid1(SALU_CYCLE_1)
	v_cmp_ne_u32_e32 vcc_lo, 0x7f800000, v113
                                        ; implicit-def: $vgpr113
	s_and_saveexec_b32 s9, vcc_lo
	s_xor_b32 s9, exec_lo, s9
; %bb.92:                               ;   in Loop: Header=BB4_75 Depth=2
	v_bfe_u32 v113, v112, 16, 1
	s_delay_alu instid0(VALU_DEP_1)
	v_add3_u32 v113, v112, v113, 0x7fff
                                        ; implicit-def: $vgpr112
; %bb.93:                               ;   in Loop: Header=BB4_75 Depth=2
	s_and_not1_saveexec_b32 s9, s9
	s_cbranch_execz .LBB4_74
; %bb.94:                               ;   in Loop: Header=BB4_75 Depth=2
	v_and_b32_e32 v113, 0xffff, v112
	v_or_b32_e32 v115, 0x10000, v112
	s_delay_alu instid0(VALU_DEP_2) | instskip(NEXT) | instid1(VALU_DEP_2)
	v_cmp_eq_u32_e32 vcc_lo, 0, v113
	v_cndmask_b32_e32 v113, v115, v112, vcc_lo
	s_branch .LBB4_74
.LBB4_95:                               ;   in Loop: Header=BB4_32 Depth=1
	s_or_b32 exec_lo, exec_lo, s18
.LBB4_96:                               ;   in Loop: Header=BB4_32 Depth=1
	s_delay_alu instid0(SALU_CYCLE_1) | instskip(SKIP_2) | instid1(VALU_DEP_2)
	s_or_b32 exec_lo, exec_lo, s10
	v_and_b32_e32 v54, 0x7ffffff8, v21
	v_cmp_gt_i32_e64 s9, s13, v98
	v_cmp_eq_u64_e32 vcc_lo, 0x7ffffff8, v[54:55]
	s_delay_alu instid0(VALU_DEP_2) | instskip(NEXT) | instid1(SALU_CYCLE_1)
	s_and_b32 s9, vcc_lo, s9
	s_and_saveexec_b32 s10, s9
	s_cbranch_execz .LBB4_99
; %bb.97:                               ;   in Loop: Header=BB4_32 Depth=1
	v_dual_mov_b32 v54, v21 :: v_dual_and_b32 v17, 7, v21
	v_ashrrev_i32_e32 v99, 31, v98
	s_mov_b32 s18, 0
	s_delay_alu instid0(VALU_DEP_2) | instskip(SKIP_1) | instid1(VALU_DEP_2)
	v_mul_lo_u32 v17, v17, s13
	s_waitcnt vmcnt(0) lgkmcnt(0)
	v_lshlrev_b64 v[19:20], 4, v[98:99]
	s_delay_alu instid0(VALU_DEP_2) | instskip(NEXT) | instid1(VALU_DEP_1)
	v_ashrrev_i32_e32 v18, 31, v17
	v_lshlrev_b64 v[17:18], 4, v[17:18]
	s_delay_alu instid0(VALU_DEP_1) | instskip(NEXT) | instid1(VALU_DEP_2)
	v_add_co_u32 v19, vcc_lo, v19, v17
	v_add_co_ci_u32_e32 v20, vcc_lo, v20, v18, vcc_lo
	v_add_co_u32 v17, vcc_lo, 0, 0
	v_add_co_ci_u32_e32 v18, vcc_lo, 1, v54, vcc_lo
	s_delay_alu instid0(VALU_DEP_4) | instskip(NEXT) | instid1(VALU_DEP_4)
	v_add_co_u32 v99, vcc_lo, v38, v19
	v_add_co_ci_u32_e32 v100, vcc_lo, v39, v20, vcc_lo
.LBB4_98:                               ;   Parent Loop BB4_32 Depth=1
                                        ; =>  This Inner Loop Header: Depth=2
	s_delay_alu instid0(VALU_DEP_4) | instskip(NEXT) | instid1(VALU_DEP_4)
	v_dual_mov_b32 v19, v17 :: v_dual_add_nc_u32 v98, v98, v1
	v_mov_b32_e32 v20, v18
	s_delay_alu instid0(VALU_DEP_2) | instskip(SKIP_2) | instid1(VALU_DEP_1)
	v_cmp_le_i32_e32 vcc_lo, s13, v98
	global_store_b128 v[99:100], v[17:20], off
	v_add_co_u32 v99, s9, v99, v96
	v_add_co_ci_u32_e64 v100, s9, v100, v97, s9
	s_or_b32 s18, vcc_lo, s18
	s_delay_alu instid0(SALU_CYCLE_1)
	s_and_not1_b32 exec_lo, exec_lo, s18
	s_cbranch_execnz .LBB4_98
.LBB4_99:                               ;   in Loop: Header=BB4_32 Depth=1
	s_or_b32 exec_lo, exec_lo, s10
	v_add_co_u32 v98, vcc_lo, v5, v25
	v_add_co_ci_u32_e32 v99, vcc_lo, v6, v26, vcc_lo
	v_add_co_u32 v100, vcc_lo, v21, 1
	v_add_co_ci_u32_e32 v101, vcc_lo, 0, v22, vcc_lo
	s_and_not1_b32 vcc_lo, exec_lo, s17
	s_cbranch_vccnz .LBB4_223
; %bb.100:                              ;   in Loop: Header=BB4_32 Depth=1
	v_lshlrev_b64 v[17:18], 1, v[98:99]
	v_add_nc_u16 v150, v21, 1
	s_mov_b32 s18, 2
	s_delay_alu instid0(VALU_DEP_2) | instskip(NEXT) | instid1(VALU_DEP_3)
	v_add_co_u32 v148, vcc_lo, v119, v17
	v_add_co_ci_u32_e32 v149, vcc_lo, v128, v18, vcc_lo
.LBB4_101:                              ;   Parent Loop BB4_32 Depth=1
                                        ; =>  This Loop Header: Depth=2
                                        ;       Child Loop BB4_108 Depth 3
                                        ;       Child Loop BB4_128 Depth 3
	;; [unrolled: 1-line block ×3, first 2 shown]
                                        ;         Child Loop BB4_152 Depth 4
                                        ;       Child Loop BB4_204 Depth 3
                                        ;       Child Loop BB4_221 Depth 3
	s_sub_i32 s20, s14, s18
	s_delay_alu instid0(SALU_CYCLE_1) | instskip(NEXT) | instid1(SALU_CYCLE_1)
	s_ashr_i32 s21, s20, 31
	s_lshl_b64 s[20:21], s[20:21], 2
	s_delay_alu instid0(SALU_CYCLE_1)
	v_add_co_u32 v17, vcc_lo, v23, s20
	v_add_co_ci_u32_e32 v18, vcc_lo, s21, v24, vcc_lo
	s_waitcnt vmcnt(0) lgkmcnt(0)
	flat_load_b32 v19, v[17:18]
	s_and_saveexec_b32 s9, s1
	s_cbranch_execz .LBB4_119
; %bb.102:                              ;   in Loop: Header=BB4_101 Depth=2
	v_add_co_u32 v17, vcc_lo, v15, 1
	v_add_co_ci_u32_e32 v18, vcc_lo, 0, v16, vcc_lo
	v_add_co_u32 v20, vcc_lo, v52, 8
	v_add_co_ci_u32_e32 v21, vcc_lo, 0, v53, vcc_lo
	s_mov_b32 s10, exec_lo
	s_delay_alu instid0(VALU_DEP_1)
	v_cmpx_lt_u64_e64 v[20:21], v[17:18]
	s_cbranch_execz .LBB4_116
; %bb.103:                              ;   in Loop: Header=BB4_101 Depth=2
	s_sleep 1
	flat_load_b64 v[52:53], v[50:51] glc
	v_cmp_eq_u32_e32 vcc_lo, 0, v145
	s_and_saveexec_b32 s19, vcc_lo
	s_cbranch_execz .LBB4_115
; %bb.104:                              ;   in Loop: Header=BB4_101 Depth=2
	v_cndmask_b32_e64 v16, 0, 1, vcc_lo
	s_mov_b32 s20, 0
                                        ; implicit-def: $sgpr21
	s_branch .LBB4_108
.LBB4_105:                              ;   in Loop: Header=BB4_108 Depth=3
	s_or_b32 exec_lo, exec_lo, s24
	s_delay_alu instid0(SALU_CYCLE_1)
	s_or_not1_b32 s24, s25, exec_lo
.LBB4_106:                              ;   in Loop: Header=BB4_108 Depth=3
	s_or_b32 exec_lo, exec_lo, s23
	s_xor_b32 s23, s24, -1
	s_and_not1_b32 s21, s21, exec_lo
	s_and_b32 s23, s23, exec_lo
	s_delay_alu instid0(SALU_CYCLE_1)
	s_or_b32 s21, s21, s23
.LBB4_107:                              ;   in Loop: Header=BB4_108 Depth=3
	s_or_b32 exec_lo, exec_lo, s22
	s_delay_alu instid0(SALU_CYCLE_1) | instskip(NEXT) | instid1(SALU_CYCLE_1)
	s_and_b32 s22, exec_lo, s21
	s_or_b32 s20, s22, s20
	s_delay_alu instid0(SALU_CYCLE_1)
	s_and_not1_b32 exec_lo, exec_lo, s20
	s_cbranch_execz .LBB4_114
.LBB4_108:                              ;   Parent Loop BB4_32 Depth=1
                                        ;     Parent Loop BB4_101 Depth=2
                                        ; =>    This Inner Loop Header: Depth=3
	s_waitcnt vmcnt(0) lgkmcnt(0)
	v_add_co_u32 v20, vcc_lo, v52, 8
	v_add_co_ci_u32_e32 v21, vcc_lo, 0, v53, vcc_lo
	v_mov_b32_e32 v145, 0
	s_or_b32 s21, s21, exec_lo
	s_mov_b32 s22, exec_lo
	s_delay_alu instid0(VALU_DEP_2)
	v_cmpx_lt_u64_e64 v[20:21], v[17:18]
	s_cbranch_execz .LBB4_107
; %bb.109:                              ;   in Loop: Header=BB4_108 Depth=3
	s_sleep 1
	flat_load_b64 v[52:53], v[50:51] glc
	v_dual_mov_b32 v145, 0 :: v_dual_add_nc_u32 v16, 1, v16
	s_mov_b32 s24, -1
	s_mov_b32 s23, exec_lo
	s_delay_alu instid0(VALU_DEP_1)
	v_cmpx_eq_u32_e32 0x2710, v16
	s_cbranch_execz .LBB4_106
; %bb.110:                              ;   in Loop: Header=BB4_108 Depth=3
	s_cbranch_execnz .LBB4_333
; %bb.111:                              ;   in Loop: Header=BB4_108 Depth=3
	ds_load_b64 v[20:21], v0
	v_dual_mov_b32 v16, 0 :: v_dual_mov_b32 v145, 0
	s_mov_b32 s25, -1
	s_mov_b32 s24, exec_lo
	s_waitcnt vmcnt(0) lgkmcnt(0)
	s_waitcnt_vscnt null, 0x0
	flat_load_b32 v20, v[20:21] glc
	s_waitcnt vmcnt(0) lgkmcnt(0)
	buffer_gl1_inv
	buffer_gl0_inv
	v_cmpx_ne_u32_e32 0, v20
	s_cbranch_execz .LBB4_105
; %bb.112:                              ;   in Loop: Header=BB4_108 Depth=3
	ds_store_b32 v0, v20
	s_cbranch_execnz .LBB4_360
; %bb.113:                              ;   in Loop: Header=BB4_108 Depth=3
	v_mov_b32_e32 v145, 1
	s_xor_b32 s25, exec_lo, -1
	s_branch .LBB4_105
.LBB4_114:                              ;   in Loop: Header=BB4_101 Depth=2
	s_or_b32 exec_lo, exec_lo, s20
.LBB4_115:                              ;   in Loop: Header=BB4_101 Depth=2
	s_delay_alu instid0(SALU_CYCLE_1)
	s_or_b32 exec_lo, exec_lo, s19
.LBB4_116:                              ;   in Loop: Header=BB4_101 Depth=2
	s_delay_alu instid0(SALU_CYCLE_1)
	s_or_b32 exec_lo, exec_lo, s10
	s_and_saveexec_b32 s10, s2
	s_cbranch_execz .LBB4_118
; %bb.117:                              ;   in Loop: Header=BB4_101 Depth=2
	v_and_b32_e32 v54, 0x7ffffff8, v15
	v_and_b32_e32 v16, 7, v15
	s_delay_alu instid0(VALU_DEP_2) | instskip(NEXT) | instid1(VALU_DEP_2)
	v_cmp_eq_u64_e32 vcc_lo, 0x7ffffff8, v[54:55]
	v_mad_u64_u32 v[20:21], null, v16, 24, v[13:14]
	v_cndmask_b32_e64 v15, v147, s15, vcc_lo
	s_delay_alu instid0(VALU_DEP_1)
	v_ashrrev_i32_e32 v16, 31, v15
	flat_store_b64 v[20:21], v[15:16] offset:8 dlc
	s_waitcnt_vscnt null, 0x0
.LBB4_118:                              ;   in Loop: Header=BB4_101 Depth=2
	s_or_b32 exec_lo, exec_lo, s10
	v_dual_mov_b32 v15, v17 :: v_dual_mov_b32 v16, v18
.LBB4_119:                              ;   in Loop: Header=BB4_101 Depth=2
	s_or_b32 exec_lo, exec_lo, s9
	s_and_saveexec_b32 s9, s3
	s_cbranch_execz .LBB4_141
; %bb.120:                              ;   in Loop: Header=BB4_101 Depth=2
	s_and_saveexec_b32 s10, s4
	s_delay_alu instid0(SALU_CYCLE_1)
	s_xor_b32 s10, exec_lo, s10
	s_cbranch_execz .LBB4_138
; %bb.121:                              ;   in Loop: Header=BB4_101 Depth=2
	s_and_saveexec_b32 s19, s5
	s_cbranch_execz .LBB4_137
; %bb.122:                              ;   in Loop: Header=BB4_101 Depth=2
	s_mov_b32 s21, exec_lo
	s_mov_b32 s20, exec_lo
	v_mbcnt_lo_u32_b32 v17, s21, 0
	s_waitcnt vmcnt(0) lgkmcnt(0)
	s_waitcnt_vscnt null, 0x0
	buffer_gl1_inv
	buffer_gl0_inv
	v_cmpx_eq_u32_e32 0, v17
	s_cbranch_execz .LBB4_124
; %bb.123:                              ;   in Loop: Header=BB4_101 Depth=2
	s_bcnt1_i32_b32 s21, s21
	s_delay_alu instid0(SALU_CYCLE_1)
	v_mov_b32_e32 v54, s21
	ds_add_u64 v0, v[54:55]
	s_cbranch_execnz .LBB4_358
.LBB4_124:                              ;   in Loop: Header=BB4_101 Depth=2
	s_or_b32 exec_lo, exec_lo, s20
	s_cbranch_execnz .LBB4_352
; %bb.125:                              ;   in Loop: Header=BB4_101 Depth=2
	ds_load_b64 v[17:18], v0
	v_add_co_u32 v2, vcc_lo, v2, v118
	v_add_co_ci_u32_e32 v3, vcc_lo, v3, v71, vcc_lo
	s_mov_b32 s20, exec_lo
	s_waitcnt lgkmcnt(0)
	s_delay_alu instid0(VALU_DEP_1)
	v_cmpx_lt_u64_e64 v[17:18], v[2:3]
	s_cbranch_execz .LBB4_136
; %bb.126:                              ;   in Loop: Header=BB4_101 Depth=2
	s_mov_b32 s21, 0
	s_mov_b32 s24, 0
                                        ; implicit-def: $sgpr22
                                        ; implicit-def: $sgpr23
	s_branch .LBB4_128
.LBB4_127:                              ;   in Loop: Header=BB4_128 Depth=3
	s_or_b32 exec_lo, exec_lo, s27
	s_delay_alu instid0(SALU_CYCLE_1) | instskip(NEXT) | instid1(SALU_CYCLE_1)
	s_and_b32 s25, exec_lo, s26
	s_or_b32 s21, s25, s21
	s_and_not1_b32 s22, s22, exec_lo
	s_and_b32 s25, s23, exec_lo
	s_delay_alu instid0(SALU_CYCLE_1)
	s_or_b32 s22, s22, s25
	s_and_not1_b32 exec_lo, exec_lo, s21
	s_cbranch_execz .LBB4_134
.LBB4_128:                              ;   Parent Loop BB4_32 Depth=1
                                        ;     Parent Loop BB4_101 Depth=2
                                        ; =>    This Inner Loop Header: Depth=3
	s_add_i32 s24, s24, 1
                                        ; implicit-def: $sgpr26
	s_delay_alu instid0(SALU_CYCLE_1) | instskip(SKIP_1) | instid1(SALU_CYCLE_1)
	s_cmpk_lg_i32 s24, 0x2710
	s_cselect_b32 s25, -1, 0
	s_and_b32 vcc_lo, exec_lo, s25
	s_cbranch_vccz .LBB4_132
.LBB4_129:                              ;   in Loop: Header=BB4_128 Depth=3
	s_and_not1_b32 s23, s23, exec_lo
	s_and_b32 s27, s26, exec_lo
	s_mov_b32 s26, -1
	s_or_b32 s23, s23, s27
	s_and_saveexec_b32 s27, s25
	s_cbranch_execz .LBB4_127
; %bb.130:                              ;   in Loop: Header=BB4_128 Depth=3
	s_sleep 1
	s_cbranch_execnz .LBB4_376
; %bb.131:                              ;   in Loop: Header=BB4_128 Depth=3
	ds_load_b64 v[17:18], v0
	s_and_not1_b32 s23, s23, exec_lo
	s_waitcnt lgkmcnt(0)
	v_cmp_ge_u64_e32 vcc_lo, v[17:18], v[2:3]
	s_or_not1_b32 s26, vcc_lo, exec_lo
	s_branch .LBB4_127
.LBB4_132:                              ;   in Loop: Header=BB4_128 Depth=3
	s_cbranch_execnz .LBB4_380
; %bb.133:                              ;   in Loop: Header=BB4_128 Depth=3
	ds_load_b64 v[17:18], v0
	s_and_not1_b32 s25, s25, exec_lo
	s_mov_b32 s24, 0
	s_mov_b32 s26, -1
	s_waitcnt lgkmcnt(0)
	flat_load_b32 v17, v[17:18] glc
	s_waitcnt vmcnt(0) lgkmcnt(0)
	buffer_gl1_inv
	buffer_gl0_inv
	v_cmp_eq_u32_e32 vcc_lo, 0, v17
	s_and_b32 s27, vcc_lo, exec_lo
	s_delay_alu instid0(SALU_CYCLE_1)
	s_or_b32 s25, s25, s27
	s_branch .LBB4_129
.LBB4_134:                              ;   in Loop: Header=BB4_101 Depth=2
	s_or_b32 exec_lo, exec_lo, s21
	s_and_saveexec_b32 s21, s22
	s_delay_alu instid0(SALU_CYCLE_1)
	s_xor_b32 s21, exec_lo, s21
	s_cbranch_execz .LBB4_136
; %bb.135:                              ;   in Loop: Header=BB4_101 Depth=2
	ds_store_b32 v0, v144
	s_cbranch_execnz .LBB4_401
.LBB4_136:                              ;   in Loop: Header=BB4_101 Depth=2
	s_or_b32 exec_lo, exec_lo, s20
	;;#ASMSTART
	s_wakeup
	;;#ASMEND
.LBB4_137:                              ;   in Loop: Header=BB4_101 Depth=2
	s_or_b32 exec_lo, exec_lo, s19
.LBB4_138:                              ;   in Loop: Header=BB4_101 Depth=2
	s_and_not1_saveexec_b32 s10, s10
	s_cbranch_execz .LBB4_140
; %bb.139:                              ;   in Loop: Header=BB4_101 Depth=2
	s_waitcnt vmcnt(0) lgkmcnt(0)
	s_waitcnt_vscnt null, 0x0
	buffer_gl1_inv
	buffer_gl0_inv
	s_barrier
.LBB4_140:                              ;   in Loop: Header=BB4_101 Depth=2
	s_or_b32 exec_lo, exec_lo, s10
.LBB4_141:                              ;   in Loop: Header=BB4_101 Depth=2
	s_delay_alu instid0(SALU_CYCLE_1)
	s_or_b32 exec_lo, exec_lo, s9
	v_mov_b32_e32 v102, v4
	s_and_saveexec_b32 s19, s8
	s_cbranch_execz .LBB4_195
; %bb.142:                              ;   in Loop: Header=BB4_101 Depth=2
	s_waitcnt vmcnt(0) lgkmcnt(0)
	v_ashrrev_i32_e32 v20, 31, v19
	v_mul_lo_u32 v22, v67, v19
	v_mad_u64_u32 v[17:18], null, v66, v19, 0
	v_dual_mov_b32 v102, v100 :: v_dual_and_b32 v19, 7, v32
	s_delay_alu instid0(VALU_DEP_4) | instskip(SKIP_1) | instid1(VALU_DEP_3)
	v_mul_lo_u32 v20, v66, v20
	v_dual_mov_b32 v166, v146 :: v_dual_and_b32 v21, 7, v100
	v_mul_lo_u32 v19, v19, s13
	v_add_nc_u32_e32 v54, 1, v32
	s_mov_b32 s20, 0
	s_delay_alu instid0(VALU_DEP_3) | instskip(SKIP_1) | instid1(VALU_DEP_4)
	v_mul_lo_u32 v21, v21, s13
	v_add3_u32 v18, v18, v20, v22
	v_ashrrev_i32_e32 v20, 31, v19
	s_delay_alu instid0(VALU_DEP_2) | instskip(NEXT) | instid1(VALU_DEP_4)
	v_lshlrev_b64 v[17:18], 1, v[17:18]
	v_ashrrev_i32_e32 v22, 31, v21
	s_delay_alu instid0(VALU_DEP_3) | instskip(NEXT) | instid1(VALU_DEP_2)
	v_lshlrev_b64 v[19:20], 4, v[19:20]
	v_lshlrev_b64 v[21:22], 4, v[21:22]
	s_delay_alu instid0(VALU_DEP_4) | instskip(SKIP_1) | instid1(VALU_DEP_4)
	v_add_co_u32 v151, vcc_lo, v148, v17
	v_add_co_ci_u32_e32 v160, vcc_lo, v149, v18, vcc_lo
	v_add_co_u32 v161, vcc_lo, v29, v19
	v_add_co_ci_u32_e32 v162, vcc_lo, v30, v20, vcc_lo
	;; [unrolled: 2-line block ×4, first 2 shown]
	v_mov_b32_e32 v102, v4
	s_branch .LBB4_144
.LBB4_143:                              ;   in Loop: Header=BB4_144 Depth=3
	s_or_b32 exec_lo, exec_lo, s9
	v_add_co_u32 v151, vcc_lo, v151, v86
	v_sub_nc_u32_e32 v166, v166, v80
	v_add_co_ci_u32_e32 v160, vcc_lo, v160, v87, vcc_lo
	v_and_b32_e32 v19, 0xffff0000, v19
	v_lshrrev_b32_e32 v17, 16, v17
	v_lshrrev_b32_e32 v103, 16, v22
	v_and_b32_e32 v20, 0xffff0000, v20
	v_add_co_u32 v21, vcc_lo, v163, v112
	v_add_co_ci_u32_e32 v22, vcc_lo, v164, v113, vcc_lo
	v_cmp_gt_i32_e32 vcc_lo, 1, v166
	v_or3_b32 v17, v19, v17, v165
	v_or3_b32 v19, v20, v103, v165
	v_mov_b32_e32 v20, v18
	v_add_nc_u32_e32 v102, v102, v1
	s_or_b32 s20, vcc_lo, s20
	global_store_b128 v[21:22], v[17:20], off
	s_and_not1_b32 exec_lo, exec_lo, s20
	s_cbranch_execz .LBB4_194
.LBB4_144:                              ;   Parent Loop BB4_32 Depth=1
                                        ;     Parent Loop BB4_101 Depth=2
                                        ; =>    This Loop Header: Depth=3
                                        ;         Child Loop BB4_152 Depth 4
	v_dual_mov_b32 v20, v160 :: v_dual_and_b32 v19, -4, v151
	v_min_u32_e32 v17, 4, v166
	v_and_b32_e32 v21, 3, v151
	v_mov_b32_e32 v167, 0
	flat_load_b32 v176, v[19:20] glc
	v_lshlrev_b32_e32 v17, 1, v17
	s_delay_alu instid0(VALU_DEP_1) | instskip(NEXT) | instid1(VALU_DEP_1)
	v_add_co_u32 v21, s9, v21, v17
	v_add_co_ci_u32_e64 v22, null, 0, 0, s9
	v_mov_b32_e32 v17, 0
	s_mov_b32 s9, exec_lo
	s_delay_alu instid0(VALU_DEP_2)
	v_cmpx_lt_u64_e32 4, v[21:22]
	s_cbranch_execz .LBB4_146
; %bb.145:                              ;   in Loop: Header=BB4_144 Depth=3
	flat_load_b32 v167, v[19:20] offset:4 glc
.LBB4_146:                              ;   in Loop: Header=BB4_144 Depth=3
	s_or_b32 exec_lo, exec_lo, s9
	s_delay_alu instid0(SALU_CYCLE_1)
	s_mov_b32 s9, exec_lo
	v_cmpx_lt_u64_e32 8, v[21:22]
	s_cbranch_execz .LBB4_148
; %bb.147:                              ;   in Loop: Header=BB4_144 Depth=3
	flat_load_b32 v17, v[19:20] offset:8 glc
.LBB4_148:                              ;   in Loop: Header=BB4_144 Depth=3
	s_or_b32 exec_lo, exec_lo, s9
	v_ashrrev_i32_e32 v103, 31, v102
	s_delay_alu instid0(VALU_DEP_1) | instskip(NEXT) | instid1(VALU_DEP_1)
	v_lshlrev_b64 v[112:113], 4, v[102:103]
	v_add_co_u32 v114, vcc_lo, v161, v112
	s_delay_alu instid0(VALU_DEP_2)
	v_add_co_ci_u32_e32 v115, vcc_lo, v162, v113, vcc_lo
	v_cmp_eq_u32_e32 vcc_lo, 0, v145
	;;#ASMSTART
	global_load_b128 v[19:22], v[114:115], off glc slc dlc
s_waitcnt vmcnt(0)

	;;#ASMEND
	s_and_saveexec_b32 s21, vcc_lo
	s_cbranch_execz .LBB4_162
; %bb.149:                              ;   in Loop: Header=BB4_144 Depth=3
	v_cmp_ne_u32_e64 s9, v54, v20
	v_cmp_ne_u32_e64 s10, v54, v22
	v_mov_b32_e32 v145, 0
	s_delay_alu instid0(VALU_DEP_2) | instskip(NEXT) | instid1(SALU_CYCLE_1)
	s_or_b32 s9, s9, s10
	s_and_saveexec_b32 s10, s9
	s_cbranch_execz .LBB4_161
; %bb.150:                              ;   in Loop: Header=BB4_144 Depth=3
	v_cndmask_b32_e64 v103, 0, 1, vcc_lo
	s_mov_b32 s22, 0
                                        ; implicit-def: $sgpr23
                                        ; implicit-def: $sgpr24
	s_branch .LBB4_152
.LBB4_151:                              ;   in Loop: Header=BB4_152 Depth=4
	s_or_b32 exec_lo, exec_lo, s25
	s_delay_alu instid0(SALU_CYCLE_1) | instskip(NEXT) | instid1(SALU_CYCLE_1)
	s_and_b32 s9, exec_lo, s9
	s_or_b32 s22, s9, s22
	s_and_not1_b32 s9, s23, exec_lo
	s_and_b32 s23, s24, exec_lo
	s_delay_alu instid0(SALU_CYCLE_1)
	s_or_b32 s23, s9, s23
	s_and_not1_b32 exec_lo, exec_lo, s22
	s_cbranch_execz .LBB4_160
.LBB4_152:                              ;   Parent Loop BB4_32 Depth=1
                                        ;     Parent Loop BB4_101 Depth=2
                                        ;       Parent Loop BB4_144 Depth=3
                                        ; =>      This Inner Loop Header: Depth=4
	s_delay_alu instid0(VALU_DEP_1)
	v_add_nc_u32_e32 v103, 1, v103
	v_mov_b32_e32 v145, 0
	s_mov_b32 s9, -1
	s_mov_b32 s26, -1
	s_mov_b32 s25, exec_lo
	;;#ASMSTART
	global_load_b128 v[19:22], v[114:115], off glc slc dlc
s_waitcnt vmcnt(0)

	;;#ASMEND
	v_cmpx_eq_u32_e32 0x2710, v103
	s_cbranch_execz .LBB4_158
; %bb.153:                              ;   in Loop: Header=BB4_152 Depth=4
	s_cbranch_execnz .LBB4_327
; %bb.154:                              ;   in Loop: Header=BB4_152 Depth=4
	ds_load_b64 v[177:178], v0
	v_mov_b32_e32 v103, 0
	v_mov_b32_e32 v145, 0
	s_mov_b32 s27, -1
	s_mov_b32 s26, exec_lo
	s_waitcnt vmcnt(0) lgkmcnt(0)
	s_waitcnt_vscnt null, 0x0
	flat_load_b32 v177, v[177:178] glc
	s_waitcnt vmcnt(0) lgkmcnt(0)
	buffer_gl1_inv
	buffer_gl0_inv
	v_cmpx_ne_u32_e32 0, v177
	s_cbranch_execz .LBB4_157
; %bb.155:                              ;   in Loop: Header=BB4_152 Depth=4
	ds_store_b32 v0, v177
	s_cbranch_execnz .LBB4_335
; %bb.156:                              ;   in Loop: Header=BB4_152 Depth=4
	v_mov_b32_e32 v145, 1
	s_xor_b32 s27, exec_lo, -1
.LBB4_157:                              ;   in Loop: Header=BB4_152 Depth=4
	s_or_b32 exec_lo, exec_lo, s26
	s_delay_alu instid0(SALU_CYCLE_1)
	s_or_not1_b32 s26, s27, exec_lo
.LBB4_158:                              ;   in Loop: Header=BB4_152 Depth=4
	s_or_b32 exec_lo, exec_lo, s25
	s_delay_alu instid0(SALU_CYCLE_1)
	s_or_b32 s24, s24, exec_lo
	s_and_saveexec_b32 s25, s26
	s_cbranch_execz .LBB4_151
; %bb.159:                              ;   in Loop: Header=BB4_152 Depth=4
	v_cmp_eq_u32_e32 vcc_lo, v54, v20
	v_cmp_eq_u32_e64 s9, v54, v22
	s_and_not1_b32 s24, s24, exec_lo
	s_delay_alu instid0(VALU_DEP_1) | instskip(NEXT) | instid1(SALU_CYCLE_1)
	s_and_b32 s9, vcc_lo, s9
	s_or_not1_b32 s9, s9, exec_lo
	s_branch .LBB4_151
.LBB4_160:                              ;   in Loop: Header=BB4_144 Depth=3
	s_or_b32 exec_lo, exec_lo, s22
	s_xor_b32 s9, s23, -1
	s_delay_alu instid0(SALU_CYCLE_1) | instskip(NEXT) | instid1(SALU_CYCLE_1)
	s_and_saveexec_b32 s22, s9
	s_xor_b32 s9, exec_lo, s22
	s_delay_alu instid0(SALU_CYCLE_1) | instskip(NEXT) | instid1(SALU_CYCLE_1)
	s_and_not1_saveexec_b32 s9, s9
	s_or_b32 exec_lo, exec_lo, s9
.LBB4_161:                              ;   in Loop: Header=BB4_144 Depth=3
	s_delay_alu instid0(SALU_CYCLE_1)
	s_or_b32 exec_lo, exec_lo, s10
.LBB4_162:                              ;   in Loop: Header=BB4_144 Depth=3
	s_delay_alu instid0(SALU_CYCLE_1) | instskip(SKIP_2) | instid1(VALU_DEP_1)
	s_or_b32 exec_lo, exec_lo, s21
	v_lshlrev_b32_e32 v20, 3, v151
	s_waitcnt vmcnt(0) lgkmcnt(0)
	v_alignbit_b32 v22, v167, v176, v20
	s_delay_alu instid0(VALU_DEP_1) | instskip(NEXT) | instid1(VALU_DEP_1)
	v_lshlrev_b32_e32 v103, 16, v22
	v_mul_f32_e32 v103, v117, v103
	s_delay_alu instid0(VALU_DEP_1) | instskip(NEXT) | instid1(VALU_DEP_1)
	v_and_b32_e32 v114, 0x7f800000, v103
	v_cmp_ne_u32_e32 vcc_lo, 0x7f800000, v114
                                        ; implicit-def: $vgpr114
	s_and_saveexec_b32 s9, vcc_lo
	s_delay_alu instid0(SALU_CYCLE_1)
	s_xor_b32 s9, exec_lo, s9
; %bb.163:                              ;   in Loop: Header=BB4_144 Depth=3
	v_bfe_u32 v114, v103, 16, 1
	s_delay_alu instid0(VALU_DEP_1)
	v_add3_u32 v114, v103, v114, 0x7fff
                                        ; implicit-def: $vgpr103
; %bb.164:                              ;   in Loop: Header=BB4_144 Depth=3
	s_and_not1_saveexec_b32 s9, s9
; %bb.165:                              ;   in Loop: Header=BB4_144 Depth=3
	v_and_b32_e32 v114, 0xffff, v103
	v_or_b32_e32 v115, 0x10000, v103
	s_delay_alu instid0(VALU_DEP_2) | instskip(NEXT) | instid1(VALU_DEP_2)
	v_cmp_eq_u32_e32 vcc_lo, 0, v114
	v_cndmask_b32_e32 v114, v115, v103, vcc_lo
; %bb.166:                              ;   in Loop: Header=BB4_144 Depth=3
	s_or_b32 exec_lo, exec_lo, s9
	v_and_b32_e32 v22, 0xffff0000, v22
	s_delay_alu instid0(VALU_DEP_1) | instskip(NEXT) | instid1(VALU_DEP_1)
	v_mul_f32_e32 v103, v117, v22
	v_and_b32_e32 v22, 0x7f800000, v103
	s_delay_alu instid0(VALU_DEP_1) | instskip(SKIP_1) | instid1(SALU_CYCLE_1)
	v_cmp_ne_u32_e32 vcc_lo, 0x7f800000, v22
                                        ; implicit-def: $vgpr22
	s_and_saveexec_b32 s9, vcc_lo
	s_xor_b32 s9, exec_lo, s9
; %bb.167:                              ;   in Loop: Header=BB4_144 Depth=3
	v_bfe_u32 v22, v103, 16, 1
	s_delay_alu instid0(VALU_DEP_1)
	v_add3_u32 v22, v103, v22, 0x7fff
                                        ; implicit-def: $vgpr103
; %bb.168:                              ;   in Loop: Header=BB4_144 Depth=3
	s_and_not1_saveexec_b32 s9, s9
; %bb.169:                              ;   in Loop: Header=BB4_144 Depth=3
	v_and_b32_e32 v22, 0xffff, v103
	v_or_b32_e32 v115, 0x10000, v103
	s_delay_alu instid0(VALU_DEP_2) | instskip(NEXT) | instid1(VALU_DEP_2)
	v_cmp_eq_u32_e32 vcc_lo, 0, v22
	v_cndmask_b32_e32 v22, v115, v103, vcc_lo
; %bb.170:                              ;   in Loop: Header=BB4_144 Depth=3
	s_or_b32 exec_lo, exec_lo, s9
	v_alignbit_b32 v17, v17, v167, v20
	s_delay_alu instid0(VALU_DEP_1) | instskip(NEXT) | instid1(VALU_DEP_1)
	v_lshlrev_b32_e32 v20, 16, v17
	v_mul_f32_e32 v20, v117, v20
	s_delay_alu instid0(VALU_DEP_1) | instskip(NEXT) | instid1(VALU_DEP_1)
	v_and_b32_e32 v103, 0x7f800000, v20
	v_cmp_ne_u32_e32 vcc_lo, 0x7f800000, v103
                                        ; implicit-def: $vgpr103
	s_and_saveexec_b32 s9, vcc_lo
	s_delay_alu instid0(SALU_CYCLE_1)
	s_xor_b32 s9, exec_lo, s9
; %bb.171:                              ;   in Loop: Header=BB4_144 Depth=3
	v_bfe_u32 v103, v20, 16, 1
	s_delay_alu instid0(VALU_DEP_1)
	v_add3_u32 v103, v20, v103, 0x7fff
                                        ; implicit-def: $vgpr20
; %bb.172:                              ;   in Loop: Header=BB4_144 Depth=3
	s_and_not1_saveexec_b32 s9, s9
; %bb.173:                              ;   in Loop: Header=BB4_144 Depth=3
	v_and_b32_e32 v103, 0xffff, v20
	v_or_b32_e32 v115, 0x10000, v20
	s_delay_alu instid0(VALU_DEP_2) | instskip(NEXT) | instid1(VALU_DEP_2)
	v_cmp_eq_u32_e32 vcc_lo, 0, v103
	v_cndmask_b32_e32 v103, v115, v20, vcc_lo
; %bb.174:                              ;   in Loop: Header=BB4_144 Depth=3
	s_or_b32 exec_lo, exec_lo, s9
	v_and_b32_e32 v17, 0xffff0000, v17
	s_delay_alu instid0(VALU_DEP_1) | instskip(NEXT) | instid1(VALU_DEP_1)
	v_mul_f32_e32 v17, v117, v17
	v_and_b32_e32 v20, 0x7f800000, v17
	s_delay_alu instid0(VALU_DEP_1) | instskip(SKIP_1) | instid1(SALU_CYCLE_1)
	v_cmp_ne_u32_e32 vcc_lo, 0x7f800000, v20
                                        ; implicit-def: $vgpr20
	s_and_saveexec_b32 s9, vcc_lo
	s_xor_b32 s9, exec_lo, s9
; %bb.175:                              ;   in Loop: Header=BB4_144 Depth=3
	v_bfe_u32 v20, v17, 16, 1
	s_delay_alu instid0(VALU_DEP_1)
	v_add3_u32 v20, v17, v20, 0x7fff
                                        ; implicit-def: $vgpr17
; %bb.176:                              ;   in Loop: Header=BB4_144 Depth=3
	s_and_not1_saveexec_b32 s9, s9
; %bb.177:                              ;   in Loop: Header=BB4_144 Depth=3
	v_and_b32_e32 v20, 0xffff, v17
	v_or_b32_e32 v115, 0x10000, v17
	s_delay_alu instid0(VALU_DEP_2) | instskip(NEXT) | instid1(VALU_DEP_2)
	v_cmp_eq_u32_e32 vcc_lo, 0, v20
	v_cndmask_b32_e32 v20, v115, v17, vcc_lo
; %bb.178:                              ;   in Loop: Header=BB4_144 Depth=3
	s_or_b32 exec_lo, exec_lo, s9
	v_and_b32_e32 v17, 0xffff0000, v114
	v_lshlrev_b32_e32 v114, 16, v19
	s_delay_alu instid0(VALU_DEP_1) | instskip(NEXT) | instid1(VALU_DEP_1)
	v_add_f32_e32 v114, v114, v17
	v_and_b32_e32 v17, 0x7f800000, v114
	s_delay_alu instid0(VALU_DEP_1) | instskip(SKIP_1) | instid1(SALU_CYCLE_1)
	v_cmp_ne_u32_e32 vcc_lo, 0x7f800000, v17
                                        ; implicit-def: $vgpr17
	s_and_saveexec_b32 s9, vcc_lo
	s_xor_b32 s9, exec_lo, s9
; %bb.179:                              ;   in Loop: Header=BB4_144 Depth=3
	v_bfe_u32 v17, v114, 16, 1
	s_delay_alu instid0(VALU_DEP_1)
	v_add3_u32 v17, v114, v17, 0x7fff
                                        ; implicit-def: $vgpr114
; %bb.180:                              ;   in Loop: Header=BB4_144 Depth=3
	s_and_not1_saveexec_b32 s9, s9
; %bb.181:                              ;   in Loop: Header=BB4_144 Depth=3
	v_and_b32_e32 v17, 0xffff, v114
	v_or_b32_e32 v115, 0x10000, v114
	s_delay_alu instid0(VALU_DEP_2) | instskip(NEXT) | instid1(VALU_DEP_2)
	v_cmp_eq_u32_e32 vcc_lo, 0, v17
	v_cndmask_b32_e32 v17, v115, v114, vcc_lo
; %bb.182:                              ;   in Loop: Header=BB4_144 Depth=3
	s_or_b32 exec_lo, exec_lo, s9
	v_and_b32_e32 v22, 0xffff0000, v22
	v_and_b32_e32 v19, 0xffff0000, v19
	s_delay_alu instid0(VALU_DEP_1) | instskip(NEXT) | instid1(VALU_DEP_1)
	v_add_f32_e32 v22, v19, v22
	v_and_b32_e32 v19, 0x7f800000, v22
	s_delay_alu instid0(VALU_DEP_1) | instskip(SKIP_1) | instid1(SALU_CYCLE_1)
	v_cmp_ne_u32_e32 vcc_lo, 0x7f800000, v19
                                        ; implicit-def: $vgpr19
	s_and_saveexec_b32 s9, vcc_lo
	s_xor_b32 s9, exec_lo, s9
; %bb.183:                              ;   in Loop: Header=BB4_144 Depth=3
	v_bfe_u32 v19, v22, 16, 1
	s_delay_alu instid0(VALU_DEP_1)
	v_add3_u32 v19, v22, v19, 0x7fff
                                        ; implicit-def: $vgpr22
; %bb.184:                              ;   in Loop: Header=BB4_144 Depth=3
	s_and_not1_saveexec_b32 s9, s9
; %bb.185:                              ;   in Loop: Header=BB4_144 Depth=3
	v_and_b32_e32 v19, 0xffff, v22
	v_or_b32_e32 v114, 0x10000, v22
	s_delay_alu instid0(VALU_DEP_2) | instskip(NEXT) | instid1(VALU_DEP_2)
	v_cmp_eq_u32_e32 vcc_lo, 0, v19
	v_cndmask_b32_e32 v19, v114, v22, vcc_lo
; %bb.186:                              ;   in Loop: Header=BB4_144 Depth=3
	s_or_b32 exec_lo, exec_lo, s9
	v_and_b32_e32 v22, 0xffff0000, v103
	v_lshlrev_b32_e32 v103, 16, v21
	s_delay_alu instid0(VALU_DEP_1) | instskip(NEXT) | instid1(VALU_DEP_1)
	v_add_f32_e32 v103, v103, v22
	v_and_b32_e32 v22, 0x7f800000, v103
	s_delay_alu instid0(VALU_DEP_1) | instskip(SKIP_1) | instid1(SALU_CYCLE_1)
	v_cmp_ne_u32_e32 vcc_lo, 0x7f800000, v22
                                        ; implicit-def: $vgpr22
	s_and_saveexec_b32 s9, vcc_lo
	s_xor_b32 s9, exec_lo, s9
; %bb.187:                              ;   in Loop: Header=BB4_144 Depth=3
	v_bfe_u32 v22, v103, 16, 1
	s_delay_alu instid0(VALU_DEP_1)
	v_add3_u32 v22, v103, v22, 0x7fff
                                        ; implicit-def: $vgpr103
; %bb.188:                              ;   in Loop: Header=BB4_144 Depth=3
	s_and_not1_saveexec_b32 s9, s9
; %bb.189:                              ;   in Loop: Header=BB4_144 Depth=3
	v_and_b32_e32 v22, 0xffff, v103
	v_or_b32_e32 v114, 0x10000, v103
	s_delay_alu instid0(VALU_DEP_2) | instskip(NEXT) | instid1(VALU_DEP_2)
	v_cmp_eq_u32_e32 vcc_lo, 0, v22
	v_cndmask_b32_e32 v22, v114, v103, vcc_lo
; %bb.190:                              ;   in Loop: Header=BB4_144 Depth=3
	s_or_b32 exec_lo, exec_lo, s9
	v_and_b32_e32 v21, 0xffff0000, v21
	v_and_b32_e32 v20, 0xffff0000, v20
	s_delay_alu instid0(VALU_DEP_1) | instskip(NEXT) | instid1(VALU_DEP_1)
	v_add_f32_e32 v21, v21, v20
	v_and_b32_e32 v20, 0x7f800000, v21
	s_delay_alu instid0(VALU_DEP_1) | instskip(SKIP_1) | instid1(SALU_CYCLE_1)
	v_cmp_ne_u32_e32 vcc_lo, 0x7f800000, v20
                                        ; implicit-def: $vgpr20
	s_and_saveexec_b32 s9, vcc_lo
	s_xor_b32 s9, exec_lo, s9
; %bb.191:                              ;   in Loop: Header=BB4_144 Depth=3
	v_bfe_u32 v20, v21, 16, 1
	s_delay_alu instid0(VALU_DEP_1)
	v_add3_u32 v20, v21, v20, 0x7fff
                                        ; implicit-def: $vgpr21
; %bb.192:                              ;   in Loop: Header=BB4_144 Depth=3
	s_and_not1_saveexec_b32 s9, s9
	s_cbranch_execz .LBB4_143
; %bb.193:                              ;   in Loop: Header=BB4_144 Depth=3
	v_and_b32_e32 v20, 0xffff, v21
	v_or_b32_e32 v103, 0x10000, v21
	s_delay_alu instid0(VALU_DEP_2) | instskip(NEXT) | instid1(VALU_DEP_2)
	v_cmp_eq_u32_e32 vcc_lo, 0, v20
	v_cndmask_b32_e32 v20, v103, v21, vcc_lo
	s_branch .LBB4_143
.LBB4_194:                              ;   in Loop: Header=BB4_101 Depth=2
	s_or_b32 exec_lo, exec_lo, s20
.LBB4_195:                              ;   in Loop: Header=BB4_101 Depth=2
	s_delay_alu instid0(SALU_CYCLE_1)
	s_or_b32 exec_lo, exec_lo, s19
	s_and_saveexec_b32 s9, s3
	s_cbranch_execz .LBB4_217
; %bb.196:                              ;   in Loop: Header=BB4_101 Depth=2
	s_and_saveexec_b32 s10, s4
	s_delay_alu instid0(SALU_CYCLE_1)
	s_xor_b32 s10, exec_lo, s10
	s_cbranch_execz .LBB4_214
; %bb.197:                              ;   in Loop: Header=BB4_101 Depth=2
	s_and_saveexec_b32 s19, s5
	s_cbranch_execz .LBB4_213
; %bb.198:                              ;   in Loop: Header=BB4_101 Depth=2
	s_mov_b32 s21, exec_lo
	s_mov_b32 s20, exec_lo
	v_mbcnt_lo_u32_b32 v17, s21, 0
	s_waitcnt vmcnt(0) lgkmcnt(0)
	s_waitcnt_vscnt null, 0x0
	buffer_gl1_inv
	buffer_gl0_inv
	v_cmpx_eq_u32_e32 0, v17
	s_cbranch_execz .LBB4_200
; %bb.199:                              ;   in Loop: Header=BB4_101 Depth=2
	s_bcnt1_i32_b32 s21, s21
	s_delay_alu instid0(SALU_CYCLE_1)
	v_mov_b32_e32 v54, s21
	ds_add_u64 v0, v[54:55]
	s_cbranch_execnz .LBB4_370
.LBB4_200:                              ;   in Loop: Header=BB4_101 Depth=2
	s_or_b32 exec_lo, exec_lo, s20
	s_cbranch_execnz .LBB4_362
; %bb.201:                              ;   in Loop: Header=BB4_101 Depth=2
	ds_load_b64 v[17:18], v0
	v_add_co_u32 v2, vcc_lo, v2, v118
	v_add_co_ci_u32_e32 v3, vcc_lo, v3, v71, vcc_lo
	s_mov_b32 s20, exec_lo
	s_waitcnt lgkmcnt(0)
	s_delay_alu instid0(VALU_DEP_1)
	v_cmpx_lt_u64_e64 v[17:18], v[2:3]
	s_cbranch_execz .LBB4_212
; %bb.202:                              ;   in Loop: Header=BB4_101 Depth=2
	s_mov_b32 s21, 0
	s_mov_b32 s24, 0
                                        ; implicit-def: $sgpr22
                                        ; implicit-def: $sgpr23
	s_branch .LBB4_204
.LBB4_203:                              ;   in Loop: Header=BB4_204 Depth=3
	s_or_b32 exec_lo, exec_lo, s27
	s_delay_alu instid0(SALU_CYCLE_1) | instskip(NEXT) | instid1(SALU_CYCLE_1)
	s_and_b32 s25, exec_lo, s26
	s_or_b32 s21, s25, s21
	s_and_not1_b32 s22, s22, exec_lo
	s_and_b32 s25, s23, exec_lo
	s_delay_alu instid0(SALU_CYCLE_1)
	s_or_b32 s22, s22, s25
	s_and_not1_b32 exec_lo, exec_lo, s21
	s_cbranch_execz .LBB4_210
.LBB4_204:                              ;   Parent Loop BB4_32 Depth=1
                                        ;     Parent Loop BB4_101 Depth=2
                                        ; =>    This Inner Loop Header: Depth=3
	s_add_i32 s24, s24, 1
                                        ; implicit-def: $sgpr26
	s_delay_alu instid0(SALU_CYCLE_1) | instskip(SKIP_1) | instid1(SALU_CYCLE_1)
	s_cmpk_lg_i32 s24, 0x2710
	s_cselect_b32 s25, -1, 0
	s_and_b32 vcc_lo, exec_lo, s25
	s_cbranch_vccz .LBB4_208
.LBB4_205:                              ;   in Loop: Header=BB4_204 Depth=3
	s_and_not1_b32 s23, s23, exec_lo
	s_and_b32 s27, s26, exec_lo
	s_mov_b32 s26, -1
	s_or_b32 s23, s23, s27
	s_and_saveexec_b32 s27, s25
	s_cbranch_execz .LBB4_203
; %bb.206:                              ;   in Loop: Header=BB4_204 Depth=3
	s_sleep 1
	s_cbranch_execnz .LBB4_382
; %bb.207:                              ;   in Loop: Header=BB4_204 Depth=3
	ds_load_b64 v[17:18], v0
	s_and_not1_b32 s23, s23, exec_lo
	s_waitcnt lgkmcnt(0)
	v_cmp_ge_u64_e32 vcc_lo, v[17:18], v[2:3]
	s_or_not1_b32 s26, vcc_lo, exec_lo
	s_branch .LBB4_203
.LBB4_208:                              ;   in Loop: Header=BB4_204 Depth=3
	s_cbranch_execnz .LBB4_384
; %bb.209:                              ;   in Loop: Header=BB4_204 Depth=3
	ds_load_b64 v[17:18], v0
	s_and_not1_b32 s25, s25, exec_lo
	s_mov_b32 s24, 0
	s_mov_b32 s26, -1
	s_waitcnt lgkmcnt(0)
	flat_load_b32 v17, v[17:18] glc
	s_waitcnt vmcnt(0) lgkmcnt(0)
	buffer_gl1_inv
	buffer_gl0_inv
	v_cmp_eq_u32_e32 vcc_lo, 0, v17
	s_and_b32 s27, vcc_lo, exec_lo
	s_delay_alu instid0(SALU_CYCLE_1)
	s_or_b32 s25, s25, s27
	s_branch .LBB4_205
.LBB4_210:                              ;   in Loop: Header=BB4_101 Depth=2
	s_or_b32 exec_lo, exec_lo, s21
	s_and_saveexec_b32 s21, s22
	s_delay_alu instid0(SALU_CYCLE_1)
	s_xor_b32 s21, exec_lo, s21
	s_cbranch_execz .LBB4_212
; %bb.211:                              ;   in Loop: Header=BB4_101 Depth=2
	ds_store_b32 v0, v144
	s_cbranch_execnz .LBB4_403
.LBB4_212:                              ;   in Loop: Header=BB4_101 Depth=2
	s_or_b32 exec_lo, exec_lo, s20
	;;#ASMSTART
	s_wakeup
	;;#ASMEND
.LBB4_213:                              ;   in Loop: Header=BB4_101 Depth=2
	s_or_b32 exec_lo, exec_lo, s19
.LBB4_214:                              ;   in Loop: Header=BB4_101 Depth=2
	s_and_not1_saveexec_b32 s10, s10
	s_cbranch_execz .LBB4_216
; %bb.215:                              ;   in Loop: Header=BB4_101 Depth=2
	s_waitcnt vmcnt(0) lgkmcnt(0)
	s_waitcnt_vscnt null, 0x0
	buffer_gl1_inv
	buffer_gl0_inv
	s_barrier
.LBB4_216:                              ;   in Loop: Header=BB4_101 Depth=2
	s_or_b32 exec_lo, exec_lo, s10
.LBB4_217:                              ;   in Loop: Header=BB4_101 Depth=2
	s_delay_alu instid0(SALU_CYCLE_1)
	s_or_b32 exec_lo, exec_lo, s9
	s_and_saveexec_b32 s9, s6
	s_cbranch_execz .LBB4_219
; %bb.218:                              ;   in Loop: Header=BB4_101 Depth=2
	v_add_co_u32 v48, vcc_lo, v48, 1
	v_add_co_ci_u32_e32 v49, vcc_lo, 0, v49, vcc_lo
	s_waitcnt vmcnt(0) lgkmcnt(0)
	s_waitcnt_vscnt null, 0x0
	flat_store_b64 v[36:37], v[48:49]
.LBB4_219:                              ;   in Loop: Header=BB4_101 Depth=2
	s_or_b32 exec_lo, exec_lo, s9
	v_and_b32_e32 v54, 0x7ffffff8, v100
	v_cmp_gt_i32_e64 s9, s13, v102
	s_delay_alu instid0(VALU_DEP_2) | instskip(NEXT) | instid1(VALU_DEP_2)
	v_cmp_eq_u64_e32 vcc_lo, 0x7ffffff8, v[54:55]
	s_and_b32 s9, vcc_lo, s9
	s_delay_alu instid0(SALU_CYCLE_1)
	s_and_saveexec_b32 s10, s9
	s_cbranch_execz .LBB4_222
; %bb.220:                              ;   in Loop: Header=BB4_101 Depth=2
	v_and_b32_e32 v17, 7, v150
	v_ashrrev_i32_e32 v103, 31, v102
	v_mov_b32_e32 v21, v100
	s_mov_b32 s19, 0
	s_delay_alu instid0(VALU_DEP_3) | instskip(SKIP_2) | instid1(VALU_DEP_2)
	v_mul_lo_u32 v17, s13, v17
	s_waitcnt vmcnt(0) lgkmcnt(0)
	v_lshlrev_b64 v[19:20], 4, v[102:103]
	v_ashrrev_i32_e32 v18, 31, v17
	s_delay_alu instid0(VALU_DEP_1) | instskip(NEXT) | instid1(VALU_DEP_1)
	v_lshlrev_b64 v[17:18], 4, v[17:18]
	v_add_co_u32 v19, vcc_lo, v19, v17
	s_delay_alu instid0(VALU_DEP_2) | instskip(SKIP_2) | instid1(VALU_DEP_4)
	v_add_co_ci_u32_e32 v20, vcc_lo, v20, v18, vcc_lo
	v_add_co_u32 v17, vcc_lo, 0, 0
	v_add_co_ci_u32_e32 v18, vcc_lo, 1, v21, vcc_lo
	v_add_co_u32 v21, vcc_lo, v38, v19
	s_delay_alu instid0(VALU_DEP_4)
	v_add_co_ci_u32_e32 v22, vcc_lo, v39, v20, vcc_lo
.LBB4_221:                              ;   Parent Loop BB4_32 Depth=1
                                        ;     Parent Loop BB4_101 Depth=2
                                        ; =>    This Inner Loop Header: Depth=3
	s_delay_alu instid0(VALU_DEP_4) | instskip(NEXT) | instid1(VALU_DEP_4)
	v_dual_mov_b32 v19, v17 :: v_dual_add_nc_u32 v102, v102, v1
	v_mov_b32_e32 v20, v18
	s_delay_alu instid0(VALU_DEP_2) | instskip(SKIP_2) | instid1(VALU_DEP_1)
	v_cmp_le_i32_e32 vcc_lo, s13, v102
	global_store_b128 v[21:22], v[17:20], off
	v_add_co_u32 v21, s9, v21, v96
	v_add_co_ci_u32_e64 v22, s9, v22, v97, s9
	s_or_b32 s19, vcc_lo, s19
	s_delay_alu instid0(SALU_CYCLE_1)
	s_and_not1_b32 exec_lo, exec_lo, s19
	s_cbranch_execnz .LBB4_221
.LBB4_222:                              ;   in Loop: Header=BB4_101 Depth=2
	s_or_b32 exec_lo, exec_lo, s10
	v_add_co_u32 v32, vcc_lo, v32, 1
	v_add_co_ci_u32_e32 v33, vcc_lo, 0, v33, vcc_lo
	v_add_co_u32 v100, vcc_lo, v100, 1
	v_add_co_ci_u32_e32 v101, vcc_lo, 0, v101, vcc_lo
	v_add_nc_u16 v150, v150, 1
	s_add_i32 s18, s18, 1
	s_delay_alu instid0(SALU_CYCLE_1)
	s_cmp_eq_u32 s18, s14
	s_cbranch_scc0 .LBB4_101
.LBB4_223:                              ;   in Loop: Header=BB4_32 Depth=1
	s_delay_alu instid0(VALU_DEP_1)
	v_dual_mov_b32 v21, v100 :: v_dual_mov_b32 v22, v101
	s_and_saveexec_b32 s10, s8
	s_cbranch_execz .LBB4_287
; %bb.224:                              ;   in Loop: Header=BB4_32 Depth=1
	s_waitcnt vmcnt(0) lgkmcnt(0)
	flat_load_b32 v19, v[23:24]
	v_and_b32_e32 v54, 7, v32
	s_mov_b32 s18, 0
	s_delay_alu instid0(VALU_DEP_1)
	v_mul_lo_u32 v100, v54, s13
	v_add_nc_u32_e32 v54, 1, v32
	s_waitcnt vmcnt(0) lgkmcnt(0)
	v_ashrrev_i32_e32 v20, 31, v19
	v_mul_lo_u32 v101, v67, v19
	v_mad_u64_u32 v[17:18], null, v66, v19, 0
	s_delay_alu instid0(VALU_DEP_3) | instskip(SKIP_1) | instid1(VALU_DEP_2)
	v_mul_lo_u32 v102, v66, v20
	v_lshlrev_b64 v[19:20], 1, v[98:99]
	v_add3_u32 v18, v18, v102, v101
	s_delay_alu instid0(VALU_DEP_2) | instskip(SKIP_1) | instid1(VALU_DEP_4)
	v_add_co_u32 v102, vcc_lo, v11, v19
	v_ashrrev_i32_e32 v101, 31, v100
	v_add_co_ci_u32_e32 v103, vcc_lo, v12, v20, vcc_lo
	s_delay_alu instid0(VALU_DEP_4) | instskip(SKIP_3) | instid1(VALU_DEP_4)
	v_lshlrev_b64 v[17:18], 1, v[17:18]
	v_add_co_u32 v98, vcc_lo, v129, v19
	v_add_co_ci_u32_e32 v99, vcc_lo, v130, v20, vcc_lo
	v_lshlrev_b64 v[19:20], 4, v[100:101]
	v_add_co_u32 v17, vcc_lo, v102, v17
	v_add_co_ci_u32_e32 v18, vcc_lo, v103, v18, vcc_lo
	v_mov_b32_e32 v100, v4
	s_delay_alu instid0(VALU_DEP_4)
	v_add_co_u32 v103, vcc_lo, v29, v19
	v_add_co_ci_u32_e32 v112, vcc_lo, v30, v20, vcc_lo
	v_add_co_u32 v113, vcc_lo, v17, v82
	v_add_co_ci_u32_e32 v114, vcc_lo, v18, v83, vcc_lo
	s_branch .LBB4_226
.LBB4_225:                              ;   in Loop: Header=BB4_226 Depth=2
	v_sub_nc_u32_e32 v146, v146, v80
	v_add_co_u32 v113, vcc_lo, v113, v86
	v_add_co_ci_u32_e32 v114, vcc_lo, v114, v87, vcc_lo
	s_delay_alu instid0(VALU_DEP_3) | instskip(SKIP_1) | instid1(VALU_DEP_1)
	v_cmp_gt_i32_e32 vcc_lo, 1, v146
	v_add_co_u32 v98, s8, v98, v86
	v_add_co_ci_u32_e64 v99, s8, v99, v87, s8
	v_add_nc_u32_e32 v100, v100, v1
	s_or_b32 s18, vcc_lo, s18
	s_delay_alu instid0(SALU_CYCLE_1)
	s_and_not1_b32 exec_lo, exec_lo, s18
	s_cbranch_execz .LBB4_286
.LBB4_226:                              ;   Parent Loop BB4_32 Depth=1
                                        ; =>  This Loop Header: Depth=2
                                        ;       Child Loop BB4_234 Depth 3
	s_delay_alu instid0(VALU_DEP_1)
	v_dual_mov_b32 v18, v114 :: v_dual_and_b32 v17, -4, v113
	v_min_u32_e32 v19, 4, v146
	v_dual_mov_b32 v115, 0 :: v_dual_and_b32 v20, 3, v113
	v_mov_b32_e32 v147, 0
	flat_load_b32 v148, v[17:18] glc
	v_lshlrev_b32_e32 v19, 1, v19
	s_delay_alu instid0(VALU_DEP_1) | instskip(NEXT) | instid1(VALU_DEP_1)
	v_add_co_u32 v19, s8, v20, v19
	v_add_co_ci_u32_e64 v20, null, 0, 0, s8
	s_mov_b32 s8, exec_lo
	s_delay_alu instid0(VALU_DEP_1)
	v_cmpx_lt_u64_e32 4, v[19:20]
	s_cbranch_execz .LBB4_228
; %bb.227:                              ;   in Loop: Header=BB4_226 Depth=2
	flat_load_b32 v147, v[17:18] offset:4 glc
.LBB4_228:                              ;   in Loop: Header=BB4_226 Depth=2
	s_or_b32 exec_lo, exec_lo, s8
	s_delay_alu instid0(SALU_CYCLE_1)
	s_mov_b32 s8, exec_lo
	v_cmpx_lt_u64_e32 8, v[19:20]
	s_cbranch_execz .LBB4_230
; %bb.229:                              ;   in Loop: Header=BB4_226 Depth=2
	flat_load_b32 v115, v[17:18] offset:8 glc
.LBB4_230:                              ;   in Loop: Header=BB4_226 Depth=2
	s_or_b32 exec_lo, exec_lo, s8
	v_ashrrev_i32_e32 v101, 31, v100
	s_delay_alu instid0(VALU_DEP_1) | instskip(NEXT) | instid1(VALU_DEP_1)
	v_lshlrev_b64 v[17:18], 4, v[100:101]
	v_add_co_u32 v101, vcc_lo, v103, v17
	s_delay_alu instid0(VALU_DEP_2)
	v_add_co_ci_u32_e32 v102, vcc_lo, v112, v18, vcc_lo
	v_cmp_eq_u32_e32 vcc_lo, 0, v145
	;;#ASMSTART
	global_load_b128 v[17:20], v[101:102], off glc slc dlc
s_waitcnt vmcnt(0)

	;;#ASMEND
	s_and_saveexec_b32 s19, vcc_lo
	s_cbranch_execz .LBB4_244
; %bb.231:                              ;   in Loop: Header=BB4_226 Depth=2
	v_cmp_ne_u32_e64 s8, v54, v18
	v_cmp_ne_u32_e64 s9, v54, v20
	v_mov_b32_e32 v145, 0
	s_delay_alu instid0(VALU_DEP_2) | instskip(NEXT) | instid1(SALU_CYCLE_1)
	s_or_b32 s8, s8, s9
	s_and_saveexec_b32 s9, s8
	s_cbranch_execz .LBB4_243
; %bb.232:                              ;   in Loop: Header=BB4_226 Depth=2
	v_cndmask_b32_e64 v149, 0, 1, vcc_lo
	s_mov_b32 s20, 0
                                        ; implicit-def: $sgpr21
                                        ; implicit-def: $sgpr22
	s_branch .LBB4_234
.LBB4_233:                              ;   in Loop: Header=BB4_234 Depth=3
	s_or_b32 exec_lo, exec_lo, s23
	s_delay_alu instid0(SALU_CYCLE_1) | instskip(NEXT) | instid1(SALU_CYCLE_1)
	s_and_b32 s8, exec_lo, s8
	s_or_b32 s20, s8, s20
	s_and_not1_b32 s8, s21, exec_lo
	s_and_b32 s21, s22, exec_lo
	s_delay_alu instid0(SALU_CYCLE_1)
	s_or_b32 s21, s8, s21
	s_and_not1_b32 exec_lo, exec_lo, s20
	s_cbranch_execz .LBB4_242
.LBB4_234:                              ;   Parent Loop BB4_32 Depth=1
                                        ;     Parent Loop BB4_226 Depth=2
                                        ; =>    This Inner Loop Header: Depth=3
	s_delay_alu instid0(VALU_DEP_1)
	v_add_nc_u32_e32 v149, 1, v149
	v_mov_b32_e32 v145, 0
	s_mov_b32 s8, -1
	s_mov_b32 s24, -1
	s_mov_b32 s23, exec_lo
	;;#ASMSTART
	global_load_b128 v[17:20], v[101:102], off glc slc dlc
s_waitcnt vmcnt(0)

	;;#ASMEND
	v_cmpx_eq_u32_e32 0x2710, v149
	s_cbranch_execz .LBB4_240
; %bb.235:                              ;   in Loop: Header=BB4_234 Depth=3
	s_cbranch_execnz .LBB4_329
; %bb.236:                              ;   in Loop: Header=BB4_234 Depth=3
	ds_load_b64 v[149:150], v0
	v_mov_b32_e32 v145, 0
	s_mov_b32 s25, -1
	s_mov_b32 s24, exec_lo
	s_waitcnt vmcnt(0) lgkmcnt(0)
	s_waitcnt_vscnt null, 0x0
	flat_load_b32 v150, v[149:150] glc
	s_waitcnt vmcnt(0) lgkmcnt(0)
	buffer_gl1_inv
	buffer_gl0_inv
	v_mov_b32_e32 v149, 0
	v_cmpx_ne_u32_e32 0, v150
	s_cbranch_execz .LBB4_239
; %bb.237:                              ;   in Loop: Header=BB4_234 Depth=3
	ds_store_b32 v0, v150
	s_cbranch_execnz .LBB4_341
; %bb.238:                              ;   in Loop: Header=BB4_234 Depth=3
	v_mov_b32_e32 v145, 1
	s_xor_b32 s25, exec_lo, -1
.LBB4_239:                              ;   in Loop: Header=BB4_234 Depth=3
	s_or_b32 exec_lo, exec_lo, s24
	s_delay_alu instid0(SALU_CYCLE_1)
	s_or_not1_b32 s24, s25, exec_lo
.LBB4_240:                              ;   in Loop: Header=BB4_234 Depth=3
	s_or_b32 exec_lo, exec_lo, s23
	s_delay_alu instid0(SALU_CYCLE_1)
	s_or_b32 s22, s22, exec_lo
	s_and_saveexec_b32 s23, s24
	s_cbranch_execz .LBB4_233
; %bb.241:                              ;   in Loop: Header=BB4_234 Depth=3
	v_cmp_eq_u32_e32 vcc_lo, v54, v18
	v_cmp_eq_u32_e64 s8, v54, v20
	s_and_not1_b32 s22, s22, exec_lo
	s_delay_alu instid0(VALU_DEP_1) | instskip(NEXT) | instid1(SALU_CYCLE_1)
	s_and_b32 s8, vcc_lo, s8
	s_or_not1_b32 s8, s8, exec_lo
	s_branch .LBB4_233
.LBB4_242:                              ;   in Loop: Header=BB4_226 Depth=2
	s_or_b32 exec_lo, exec_lo, s20
	s_xor_b32 s8, s21, -1
	s_delay_alu instid0(SALU_CYCLE_1) | instskip(NEXT) | instid1(SALU_CYCLE_1)
	s_and_saveexec_b32 s20, s8
	s_xor_b32 s8, exec_lo, s20
	s_delay_alu instid0(SALU_CYCLE_1) | instskip(NEXT) | instid1(SALU_CYCLE_1)
	s_and_not1_saveexec_b32 s8, s8
	s_or_b32 exec_lo, exec_lo, s8
.LBB4_243:                              ;   in Loop: Header=BB4_226 Depth=2
	s_delay_alu instid0(SALU_CYCLE_1)
	s_or_b32 exec_lo, exec_lo, s9
.LBB4_244:                              ;   in Loop: Header=BB4_226 Depth=2
	s_delay_alu instid0(SALU_CYCLE_1) | instskip(SKIP_2) | instid1(VALU_DEP_1)
	s_or_b32 exec_lo, exec_lo, s19
	v_lshlrev_b32_e32 v20, 3, v113
	s_waitcnt vmcnt(0) lgkmcnt(0)
	v_alignbit_b32 v101, v147, v148, v20
	s_delay_alu instid0(VALU_DEP_1) | instskip(NEXT) | instid1(VALU_DEP_1)
	v_lshlrev_b32_e32 v18, 16, v101
	v_mul_f32_e32 v102, v117, v18
	s_delay_alu instid0(VALU_DEP_1) | instskip(NEXT) | instid1(VALU_DEP_1)
	v_and_b32_e32 v18, 0x7f800000, v102
	v_cmp_ne_u32_e32 vcc_lo, 0x7f800000, v18
                                        ; implicit-def: $vgpr18
	s_and_saveexec_b32 s8, vcc_lo
	s_delay_alu instid0(SALU_CYCLE_1)
	s_xor_b32 s8, exec_lo, s8
; %bb.245:                              ;   in Loop: Header=BB4_226 Depth=2
	v_bfe_u32 v18, v102, 16, 1
	s_delay_alu instid0(VALU_DEP_1)
	v_add3_u32 v18, v102, v18, 0x7fff
                                        ; implicit-def: $vgpr102
; %bb.246:                              ;   in Loop: Header=BB4_226 Depth=2
	s_and_not1_saveexec_b32 s8, s8
; %bb.247:                              ;   in Loop: Header=BB4_226 Depth=2
	v_and_b32_e32 v18, 0xffff, v102
	v_or_b32_e32 v148, 0x10000, v102
	s_delay_alu instid0(VALU_DEP_2) | instskip(NEXT) | instid1(VALU_DEP_2)
	v_cmp_eq_u32_e32 vcc_lo, 0, v18
	v_cndmask_b32_e32 v18, v148, v102, vcc_lo
; %bb.248:                              ;   in Loop: Header=BB4_226 Depth=2
	s_or_b32 exec_lo, exec_lo, s8
	v_and_b32_e32 v101, 0xffff0000, v101
	s_delay_alu instid0(VALU_DEP_1) | instskip(NEXT) | instid1(VALU_DEP_1)
	v_mul_f32_e32 v102, v117, v101
	v_and_b32_e32 v101, 0x7f800000, v102
	s_delay_alu instid0(VALU_DEP_1) | instskip(SKIP_1) | instid1(SALU_CYCLE_1)
	v_cmp_ne_u32_e32 vcc_lo, 0x7f800000, v101
                                        ; implicit-def: $vgpr101
	s_and_saveexec_b32 s8, vcc_lo
	s_xor_b32 s8, exec_lo, s8
; %bb.249:                              ;   in Loop: Header=BB4_226 Depth=2
	v_bfe_u32 v101, v102, 16, 1
	s_delay_alu instid0(VALU_DEP_1)
	v_add3_u32 v101, v102, v101, 0x7fff
                                        ; implicit-def: $vgpr102
; %bb.250:                              ;   in Loop: Header=BB4_226 Depth=2
	s_and_not1_saveexec_b32 s8, s8
; %bb.251:                              ;   in Loop: Header=BB4_226 Depth=2
	v_and_b32_e32 v101, 0xffff, v102
	v_or_b32_e32 v148, 0x10000, v102
	s_delay_alu instid0(VALU_DEP_2) | instskip(NEXT) | instid1(VALU_DEP_2)
	v_cmp_eq_u32_e32 vcc_lo, 0, v101
	v_cndmask_b32_e32 v101, v148, v102, vcc_lo
; %bb.252:                              ;   in Loop: Header=BB4_226 Depth=2
	s_or_b32 exec_lo, exec_lo, s8
	v_alignbit_b32 v20, v115, v147, v20
	s_delay_alu instid0(VALU_DEP_1) | instskip(NEXT) | instid1(VALU_DEP_1)
	v_lshlrev_b32_e32 v102, 16, v20
	v_mul_f32_e32 v115, v117, v102
	s_delay_alu instid0(VALU_DEP_1) | instskip(NEXT) | instid1(VALU_DEP_1)
	v_and_b32_e32 v102, 0x7f800000, v115
	v_cmp_ne_u32_e32 vcc_lo, 0x7f800000, v102
                                        ; implicit-def: $vgpr102
	s_and_saveexec_b32 s8, vcc_lo
	s_delay_alu instid0(SALU_CYCLE_1)
	s_xor_b32 s8, exec_lo, s8
; %bb.253:                              ;   in Loop: Header=BB4_226 Depth=2
	v_bfe_u32 v102, v115, 16, 1
	s_delay_alu instid0(VALU_DEP_1)
	v_add3_u32 v102, v115, v102, 0x7fff
                                        ; implicit-def: $vgpr115
; %bb.254:                              ;   in Loop: Header=BB4_226 Depth=2
	s_and_not1_saveexec_b32 s8, s8
; %bb.255:                              ;   in Loop: Header=BB4_226 Depth=2
	v_and_b32_e32 v102, 0xffff, v115
	v_or_b32_e32 v147, 0x10000, v115
	s_delay_alu instid0(VALU_DEP_2) | instskip(NEXT) | instid1(VALU_DEP_2)
	v_cmp_eq_u32_e32 vcc_lo, 0, v102
	v_cndmask_b32_e32 v102, v147, v115, vcc_lo
; %bb.256:                              ;   in Loop: Header=BB4_226 Depth=2
	s_or_b32 exec_lo, exec_lo, s8
	v_and_b32_e32 v20, 0xffff0000, v20
	s_delay_alu instid0(VALU_DEP_1) | instskip(NEXT) | instid1(VALU_DEP_1)
	v_mul_f32_e32 v115, v117, v20
	v_and_b32_e32 v20, 0x7f800000, v115
	s_delay_alu instid0(VALU_DEP_1) | instskip(SKIP_1) | instid1(SALU_CYCLE_1)
	v_cmp_ne_u32_e32 vcc_lo, 0x7f800000, v20
                                        ; implicit-def: $vgpr20
	s_and_saveexec_b32 s8, vcc_lo
	s_xor_b32 s8, exec_lo, s8
; %bb.257:                              ;   in Loop: Header=BB4_226 Depth=2
	v_bfe_u32 v20, v115, 16, 1
	s_delay_alu instid0(VALU_DEP_1)
	v_add3_u32 v20, v115, v20, 0x7fff
                                        ; implicit-def: $vgpr115
; %bb.258:                              ;   in Loop: Header=BB4_226 Depth=2
	s_and_not1_saveexec_b32 s8, s8
; %bb.259:                              ;   in Loop: Header=BB4_226 Depth=2
	v_and_b32_e32 v20, 0xffff, v115
	v_or_b32_e32 v147, 0x10000, v115
	s_delay_alu instid0(VALU_DEP_2) | instskip(NEXT) | instid1(VALU_DEP_2)
	v_cmp_eq_u32_e32 vcc_lo, 0, v20
	v_cndmask_b32_e32 v20, v147, v115, vcc_lo
; %bb.260:                              ;   in Loop: Header=BB4_226 Depth=2
	s_or_b32 exec_lo, exec_lo, s8
	v_and_b32_e32 v18, 0xffff0000, v18
	v_lshlrev_b32_e32 v115, 16, v17
	s_delay_alu instid0(VALU_DEP_1) | instskip(NEXT) | instid1(VALU_DEP_1)
	v_add_f32_e32 v115, v115, v18
	v_and_b32_e32 v18, 0x7f800000, v115
	s_delay_alu instid0(VALU_DEP_1) | instskip(SKIP_1) | instid1(SALU_CYCLE_1)
	v_cmp_ne_u32_e32 vcc_lo, 0x7f800000, v18
                                        ; implicit-def: $vgpr18
	s_and_saveexec_b32 s8, vcc_lo
	s_xor_b32 s8, exec_lo, s8
; %bb.261:                              ;   in Loop: Header=BB4_226 Depth=2
	v_bfe_u32 v18, v115, 16, 1
	s_delay_alu instid0(VALU_DEP_1)
	v_add3_u32 v18, v115, v18, 0x7fff
                                        ; implicit-def: $vgpr115
; %bb.262:                              ;   in Loop: Header=BB4_226 Depth=2
	s_and_not1_saveexec_b32 s8, s8
; %bb.263:                              ;   in Loop: Header=BB4_226 Depth=2
	v_and_b32_e32 v18, 0xffff, v115
	v_or_b32_e32 v147, 0x10000, v115
	s_delay_alu instid0(VALU_DEP_2) | instskip(NEXT) | instid1(VALU_DEP_2)
	v_cmp_eq_u32_e32 vcc_lo, 0, v18
	v_cndmask_b32_e32 v18, v147, v115, vcc_lo
; %bb.264:                              ;   in Loop: Header=BB4_226 Depth=2
	s_or_b32 exec_lo, exec_lo, s8
	v_and_b32_e32 v101, 0xffff0000, v101
	v_and_b32_e32 v17, 0xffff0000, v17
	s_delay_alu instid0(VALU_DEP_1) | instskip(NEXT) | instid1(VALU_DEP_1)
	v_add_f32_e32 v101, v17, v101
	v_and_b32_e32 v17, 0x7f800000, v101
	s_delay_alu instid0(VALU_DEP_1) | instskip(SKIP_1) | instid1(SALU_CYCLE_1)
	v_cmp_ne_u32_e32 vcc_lo, 0x7f800000, v17
                                        ; implicit-def: $vgpr17
	s_and_saveexec_b32 s8, vcc_lo
	s_xor_b32 s8, exec_lo, s8
; %bb.265:                              ;   in Loop: Header=BB4_226 Depth=2
	v_bfe_u32 v17, v101, 16, 1
	s_delay_alu instid0(VALU_DEP_1)
	v_add3_u32 v17, v101, v17, 0x7fff
                                        ; implicit-def: $vgpr101
; %bb.266:                              ;   in Loop: Header=BB4_226 Depth=2
	s_and_not1_saveexec_b32 s8, s8
; %bb.267:                              ;   in Loop: Header=BB4_226 Depth=2
	v_and_b32_e32 v17, 0xffff, v101
	v_or_b32_e32 v115, 0x10000, v101
	s_delay_alu instid0(VALU_DEP_2) | instskip(NEXT) | instid1(VALU_DEP_2)
	v_cmp_eq_u32_e32 vcc_lo, 0, v17
	v_cndmask_b32_e32 v17, v115, v101, vcc_lo
; %bb.268:                              ;   in Loop: Header=BB4_226 Depth=2
	s_or_b32 exec_lo, exec_lo, s8
	v_and_b32_e32 v101, 0xffff0000, v102
	v_lshlrev_b32_e32 v102, 16, v19
	s_delay_alu instid0(VALU_DEP_1) | instskip(NEXT) | instid1(VALU_DEP_1)
	v_add_f32_e32 v102, v102, v101
	v_and_b32_e32 v101, 0x7f800000, v102
	s_delay_alu instid0(VALU_DEP_1) | instskip(SKIP_1) | instid1(SALU_CYCLE_1)
	v_cmp_ne_u32_e32 vcc_lo, 0x7f800000, v101
                                        ; implicit-def: $vgpr101
	s_and_saveexec_b32 s8, vcc_lo
	s_xor_b32 s8, exec_lo, s8
; %bb.269:                              ;   in Loop: Header=BB4_226 Depth=2
	v_bfe_u32 v101, v102, 16, 1
	s_delay_alu instid0(VALU_DEP_1)
	v_add3_u32 v101, v102, v101, 0x7fff
                                        ; implicit-def: $vgpr102
; %bb.270:                              ;   in Loop: Header=BB4_226 Depth=2
	s_and_not1_saveexec_b32 s8, s8
; %bb.271:                              ;   in Loop: Header=BB4_226 Depth=2
	v_and_b32_e32 v101, 0xffff, v102
	v_or_b32_e32 v115, 0x10000, v102
	s_delay_alu instid0(VALU_DEP_2) | instskip(NEXT) | instid1(VALU_DEP_2)
	v_cmp_eq_u32_e32 vcc_lo, 0, v101
	v_cndmask_b32_e32 v101, v115, v102, vcc_lo
; %bb.272:                              ;   in Loop: Header=BB4_226 Depth=2
	s_or_b32 exec_lo, exec_lo, s8
	v_and_b32_e32 v19, 0xffff0000, v19
	v_and_b32_e32 v20, 0xffff0000, v20
	s_delay_alu instid0(VALU_DEP_1) | instskip(NEXT) | instid1(VALU_DEP_1)
	v_add_f32_e32 v20, v19, v20
	v_and_b32_e32 v19, 0x7f800000, v20
	s_delay_alu instid0(VALU_DEP_1) | instskip(SKIP_1) | instid1(SALU_CYCLE_1)
	v_cmp_ne_u32_e32 vcc_lo, 0x7f800000, v19
                                        ; implicit-def: $vgpr19
	s_and_saveexec_b32 s8, vcc_lo
	s_xor_b32 s8, exec_lo, s8
; %bb.273:                              ;   in Loop: Header=BB4_226 Depth=2
	v_bfe_u32 v19, v20, 16, 1
	s_delay_alu instid0(VALU_DEP_1)
	v_add3_u32 v19, v20, v19, 0x7fff
                                        ; implicit-def: $vgpr20
; %bb.274:                              ;   in Loop: Header=BB4_226 Depth=2
	s_and_not1_saveexec_b32 s8, s8
; %bb.275:                              ;   in Loop: Header=BB4_226 Depth=2
	v_and_b32_e32 v19, 0xffff, v20
	v_or_b32_e32 v102, 0x10000, v20
	s_delay_alu instid0(VALU_DEP_2) | instskip(NEXT) | instid1(VALU_DEP_2)
	v_cmp_eq_u32_e32 vcc_lo, 0, v19
	v_cndmask_b32_e32 v19, v102, v20, vcc_lo
; %bb.276:                              ;   in Loop: Header=BB4_226 Depth=2
	s_or_b32 exec_lo, exec_lo, s8
	v_cmp_lt_u32_e32 vcc_lo, 3, v146
	s_and_b32 s8, s7, vcc_lo
	s_delay_alu instid0(SALU_CYCLE_1) | instskip(SKIP_1) | instid1(VALU_DEP_1)
	v_cndmask_b32_e64 v20, 0, 1, s8
	;;#ASMSTART
	;;#ASMEND
	v_cmp_ne_u32_e64 s8, 0, v20
	s_delay_alu instid0(VALU_DEP_1)
	s_cmp_lg_u32 s8, exec_lo
	s_mov_b32 s8, -1
	s_cbranch_scc0 .LBB4_284
; %bb.277:                              ;   in Loop: Header=BB4_226 Depth=2
	s_mov_b32 s9, exec_lo
	flat_store_d16_hi_b16 v[98:99], v18
	v_cmpx_ne_u32_e32 1, v146
	s_cbranch_execz .LBB4_279
; %bb.278:                              ;   in Loop: Header=BB4_226 Depth=2
	flat_store_d16_hi_b16 v[98:99], v17 offset:2
.LBB4_279:                              ;   in Loop: Header=BB4_226 Depth=2
	s_or_b32 exec_lo, exec_lo, s9
	s_delay_alu instid0(SALU_CYCLE_1)
	s_mov_b32 s9, exec_lo
	v_cmpx_lt_u32_e32 2, v146
	s_cbranch_execz .LBB4_281
; %bb.280:                              ;   in Loop: Header=BB4_226 Depth=2
	flat_store_d16_hi_b16 v[98:99], v101 offset:4
.LBB4_281:                              ;   in Loop: Header=BB4_226 Depth=2
	s_or_b32 exec_lo, exec_lo, s9
	s_and_saveexec_b32 s8, vcc_lo
	s_cbranch_execz .LBB4_283
; %bb.282:                              ;   in Loop: Header=BB4_226 Depth=2
	flat_store_d16_hi_b16 v[98:99], v19 offset:6
.LBB4_283:                              ;   in Loop: Header=BB4_226 Depth=2
	s_or_b32 exec_lo, exec_lo, s8
	s_mov_b32 s8, 0
.LBB4_284:                              ;   in Loop: Header=BB4_226 Depth=2
	s_delay_alu instid0(SALU_CYCLE_1)
	s_and_b32 vcc_lo, exec_lo, s8
	s_cbranch_vccz .LBB4_225
; %bb.285:                              ;   in Loop: Header=BB4_226 Depth=2
	v_lshrrev_b32_e32 v18, 16, v18
	v_lshrrev_b32_e32 v20, 16, v101
	s_delay_alu instid0(VALU_DEP_2) | instskip(NEXT) | instid1(VALU_DEP_2)
	v_and_or_b32 v17, 0xffff0000, v17, v18
	v_and_or_b32 v18, 0xffff0000, v19, v20
	global_store_b64 v[98:99], v[17:18], off
	s_branch .LBB4_225
.LBB4_286:                              ;   in Loop: Header=BB4_32 Depth=1
	s_or_b32 exec_lo, exec_lo, s18
.LBB4_287:                              ;   in Loop: Header=BB4_32 Depth=1
	s_delay_alu instid0(SALU_CYCLE_1)
	s_or_b32 exec_lo, exec_lo, s10
	s_and_saveexec_b32 s8, s3
	s_cbranch_execz .LBB4_309
; %bb.288:                              ;   in Loop: Header=BB4_32 Depth=1
	s_and_saveexec_b32 s9, s4
	s_delay_alu instid0(SALU_CYCLE_1)
	s_xor_b32 s9, exec_lo, s9
	s_cbranch_execz .LBB4_306
; %bb.289:                              ;   in Loop: Header=BB4_32 Depth=1
	s_and_saveexec_b32 s10, s5
	s_cbranch_execz .LBB4_305
; %bb.290:                              ;   in Loop: Header=BB4_32 Depth=1
	s_mov_b32 s19, exec_lo
	s_mov_b32 s18, exec_lo
	v_mbcnt_lo_u32_b32 v17, s19, 0
	s_waitcnt vmcnt(0) lgkmcnt(0)
	s_waitcnt_vscnt null, 0x0
	buffer_gl1_inv
	buffer_gl0_inv
	v_cmpx_eq_u32_e32 0, v17
	s_cbranch_execz .LBB4_292
; %bb.291:                              ;   in Loop: Header=BB4_32 Depth=1
	s_bcnt1_i32_b32 s19, s19
	s_delay_alu instid0(SALU_CYCLE_1)
	v_mov_b32_e32 v54, s19
	ds_add_u64 v0, v[54:55]
	s_cbranch_execnz .LBB4_378
.LBB4_292:                              ;   in Loop: Header=BB4_32 Depth=1
	s_or_b32 exec_lo, exec_lo, s18
	s_cbranch_execnz .LBB4_366
; %bb.293:                              ;   in Loop: Header=BB4_32 Depth=1
	ds_load_b64 v[17:18], v0
	v_add_co_u32 v2, vcc_lo, v2, v118
	v_add_co_ci_u32_e32 v3, vcc_lo, v3, v71, vcc_lo
	s_mov_b32 s18, exec_lo
	s_waitcnt lgkmcnt(0)
	s_delay_alu instid0(VALU_DEP_1)
	v_cmpx_lt_u64_e64 v[17:18], v[2:3]
	s_cbranch_execz .LBB4_304
; %bb.294:                              ;   in Loop: Header=BB4_32 Depth=1
	s_mov_b32 s19, 0
	s_mov_b32 s22, 0
                                        ; implicit-def: $sgpr20
                                        ; implicit-def: $sgpr21
	s_branch .LBB4_296
.LBB4_295:                              ;   in Loop: Header=BB4_296 Depth=2
	s_or_b32 exec_lo, exec_lo, s25
	s_delay_alu instid0(SALU_CYCLE_1) | instskip(NEXT) | instid1(SALU_CYCLE_1)
	s_and_b32 s23, exec_lo, s24
	s_or_b32 s19, s23, s19
	s_and_not1_b32 s20, s20, exec_lo
	s_and_b32 s23, s21, exec_lo
	s_delay_alu instid0(SALU_CYCLE_1)
	s_or_b32 s20, s20, s23
	s_and_not1_b32 exec_lo, exec_lo, s19
	s_cbranch_execz .LBB4_302
.LBB4_296:                              ;   Parent Loop BB4_32 Depth=1
                                        ; =>  This Inner Loop Header: Depth=2
	s_add_i32 s22, s22, 1
                                        ; implicit-def: $sgpr24
	s_delay_alu instid0(SALU_CYCLE_1) | instskip(SKIP_1) | instid1(SALU_CYCLE_1)
	s_cmpk_lg_i32 s22, 0x2710
	s_cselect_b32 s23, -1, 0
	s_and_b32 vcc_lo, exec_lo, s23
	s_cbranch_vccz .LBB4_300
.LBB4_297:                              ;   in Loop: Header=BB4_296 Depth=2
	s_and_not1_b32 s21, s21, exec_lo
	s_and_b32 s25, s24, exec_lo
	s_mov_b32 s24, -1
	s_or_b32 s21, s21, s25
	s_and_saveexec_b32 s25, s23
	s_cbranch_execz .LBB4_295
; %bb.298:                              ;   in Loop: Header=BB4_296 Depth=2
	s_sleep 1
	s_cbranch_execnz .LBB4_386
; %bb.299:                              ;   in Loop: Header=BB4_296 Depth=2
	ds_load_b64 v[17:18], v0
	s_and_not1_b32 s21, s21, exec_lo
	s_waitcnt lgkmcnt(0)
	v_cmp_ge_u64_e32 vcc_lo, v[17:18], v[2:3]
	s_or_not1_b32 s24, vcc_lo, exec_lo
	s_branch .LBB4_295
.LBB4_300:                              ;   in Loop: Header=BB4_296 Depth=2
	s_cbranch_execnz .LBB4_388
; %bb.301:                              ;   in Loop: Header=BB4_296 Depth=2
	ds_load_b64 v[17:18], v0
	s_and_not1_b32 s23, s23, exec_lo
	s_mov_b32 s22, 0
	s_mov_b32 s24, -1
	s_waitcnt lgkmcnt(0)
	flat_load_b32 v17, v[17:18] glc
	s_waitcnt vmcnt(0) lgkmcnt(0)
	buffer_gl1_inv
	buffer_gl0_inv
	v_cmp_eq_u32_e32 vcc_lo, 0, v17
	s_and_b32 s25, vcc_lo, exec_lo
	s_delay_alu instid0(SALU_CYCLE_1)
	s_or_b32 s23, s23, s25
	s_branch .LBB4_297
.LBB4_302:                              ;   in Loop: Header=BB4_32 Depth=1
	s_or_b32 exec_lo, exec_lo, s19
	s_and_saveexec_b32 s19, s20
	s_delay_alu instid0(SALU_CYCLE_1)
	s_xor_b32 s19, exec_lo, s19
	s_cbranch_execz .LBB4_304
; %bb.303:                              ;   in Loop: Header=BB4_32 Depth=1
	ds_store_b32 v0, v144
	s_cbranch_execnz .LBB4_405
.LBB4_304:                              ;   in Loop: Header=BB4_32 Depth=1
	s_or_b32 exec_lo, exec_lo, s18
	;;#ASMSTART
	s_wakeup
	;;#ASMEND
.LBB4_305:                              ;   in Loop: Header=BB4_32 Depth=1
	s_or_b32 exec_lo, exec_lo, s10
.LBB4_306:                              ;   in Loop: Header=BB4_32 Depth=1
	s_and_not1_saveexec_b32 s9, s9
	s_cbranch_execz .LBB4_308
; %bb.307:                              ;   in Loop: Header=BB4_32 Depth=1
	s_waitcnt vmcnt(0) lgkmcnt(0)
	s_waitcnt_vscnt null, 0x0
	buffer_gl1_inv
	buffer_gl0_inv
	s_barrier
.LBB4_308:                              ;   in Loop: Header=BB4_32 Depth=1
	s_or_b32 exec_lo, exec_lo, s9
.LBB4_309:                              ;   in Loop: Header=BB4_32 Depth=1
	s_delay_alu instid0(SALU_CYCLE_1)
	s_or_b32 exec_lo, exec_lo, s8
	s_and_saveexec_b32 s8, s6
	s_cbranch_execz .LBB4_311
; %bb.310:                              ;   in Loop: Header=BB4_32 Depth=1
	v_add_co_u32 v48, vcc_lo, v48, 1
	v_add_co_ci_u32_e32 v49, vcc_lo, 0, v49, vcc_lo
	s_waitcnt vmcnt(0) lgkmcnt(0)
	s_waitcnt_vscnt null, 0x0
	flat_store_b64 v[36:37], v[48:49]
.LBB4_311:                              ;   in Loop: Header=BB4_32 Depth=1
	s_or_b32 exec_lo, exec_lo, s8
	v_add_co_u32 v5, vcc_lo, v5, v64
	v_add_co_ci_u32_e32 v6, vcc_lo, 0, v6, vcc_lo
	v_add_co_u32 v32, vcc_lo, v32, 1
	v_add_co_ci_u32_e32 v33, vcc_lo, 0, v33, vcc_lo
	s_delay_alu instid0(VALU_DEP_3) | instskip(SKIP_1) | instid1(VALU_DEP_1)
	v_cmp_ge_u64_e32 vcc_lo, v[5:6], v[7:8]
	v_add_co_u32 v9, s8, v9, v131
	v_add_co_ci_u32_e64 v10, s8, 0, v10, s8
	v_add_nc_u32_e32 v0, v0, v81
	s_or_b32 s16, vcc_lo, s16
	s_delay_alu instid0(SALU_CYCLE_1)
	s_and_not1_b32 exec_lo, exec_lo, s16
	s_cbranch_execnz .LBB4_32
; %bb.312:
	s_or_b32 exec_lo, exec_lo, s16
.LBB4_313:
	s_delay_alu instid0(SALU_CYCLE_1)
	s_or_b32 exec_lo, exec_lo, s12
	s_and_saveexec_b32 s1, s11
	s_cbranch_execz .LBB4_315
; %bb.314:
	s_waitcnt lgkmcnt(0)
	flat_store_b64 v[27:28], v[48:49] offset:104
.LBB4_315:
	s_or_b32 exec_lo, exec_lo, s1
	s_and_saveexec_b32 s1, s0
	s_cbranch_execz .LBB4_317
; %bb.316:
	s_waitcnt lgkmcnt(0)
	flat_store_b64 v[34:35], v[15:16] offset:104
.LBB4_317:
	s_or_b32 exec_lo, exec_lo, s1
	s_delay_alu instid0(SALU_CYCLE_1)
	s_mov_b32 s0, exec_lo
	v_cmpx_ne_u32_e32 32, v1
	s_cbranch_execz .LBB4_396
; %bb.318:
	s_mov_b32 s1, exec_lo
	v_cmpx_ne_u32_e64 v116, v1
	s_xor_b32 s1, exec_lo, s1
	s_cbranch_execz .LBB4_394
; %bb.319:
	v_and_b32_e32 v0, 31, v31
	s_mov_b32 s2, exec_lo
	s_delay_alu instid0(VALU_DEP_1)
	v_cmpx_eq_u32_e32 0, v0
	s_cbranch_execz .LBB4_393
; %bb.320:
	s_mov_b32 s4, exec_lo
	s_mov_b32 s3, exec_lo
	v_mbcnt_lo_u32_b32 v0, s4, 0
	s_waitcnt vmcnt(0) lgkmcnt(0)
	s_waitcnt_vscnt null, 0x0
	buffer_gl1_inv
	buffer_gl0_inv
	v_cmpx_eq_u32_e32 0, v0
	s_cbranch_execz .LBB4_322
; %bb.321:
	s_bcnt1_i32_b32 s4, s4
	s_delay_alu instid0(SALU_CYCLE_1)
	v_dual_mov_b32 v5, 0 :: v_dual_mov_b32 v4, s4
	ds_add_u64 v0, v[4:5]
	s_cbranch_execnz .LBB4_354
.LBB4_322:
	s_or_b32 exec_lo, exec_lo, s3
	s_cbranch_execnz .LBB4_339
; %bb.323:
	v_ashrrev_i32_e32 v0, 31, v1
	s_mov_b32 s3, exec_lo
	s_delay_alu instid0(VALU_DEP_1) | instskip(NEXT) | instid1(VALU_DEP_1)
	v_lshrrev_b32_e32 v0, 27, v0
	v_add_nc_u32_e32 v0, v1, v0
	ds_load_b64 v[4:5], v0
	v_ashrrev_i32_e32 v0, 5, v0
	s_delay_alu instid0(VALU_DEP_1) | instskip(SKIP_1) | instid1(VALU_DEP_2)
	v_ashrrev_i32_e32 v1, 31, v0
	v_add_co_u32 v0, vcc_lo, v2, v0
	v_add_co_ci_u32_e32 v1, vcc_lo, v3, v1, vcc_lo
	s_waitcnt lgkmcnt(0)
	s_delay_alu instid0(VALU_DEP_1)
	v_cmpx_lt_u64_e64 v[4:5], v[0:1]
	s_cbranch_execz .LBB4_392
; %bb.324:
	s_mov_b32 s4, 0
	s_mov_b32 s7, 0
                                        ; implicit-def: $sgpr5
                                        ; implicit-def: $sgpr6
	s_branch .LBB4_344
.LBB4_325:
	s_trap 2
	s_sendmsg_rtn_b32 s0, sendmsg(MSG_RTN_GET_DOORBELL)
	s_mov_b32 ttmp2, m0
	s_waitcnt lgkmcnt(0)
	s_and_b32 s0, s0, 0x3ff
	s_delay_alu instid0(SALU_CYCLE_1) | instskip(NEXT) | instid1(SALU_CYCLE_1)
	s_bitset1_b32 s0, 10
	s_mov_b32 m0, s0
	s_sendmsg sendmsg(MSG_INTERRUPT)
	s_mov_b32 m0, ttmp2
.LBB4_326:                              ; =>This Inner Loop Header: Depth=1
	s_sethalt 5
	s_branch .LBB4_326
.LBB4_327:
	s_trap 2
	s_sendmsg_rtn_b32 s0, sendmsg(MSG_RTN_GET_DOORBELL)
	s_mov_b32 ttmp2, m0
	s_waitcnt lgkmcnt(0)
	s_and_b32 s0, s0, 0x3ff
	s_delay_alu instid0(SALU_CYCLE_1) | instskip(NEXT) | instid1(SALU_CYCLE_1)
	s_bitset1_b32 s0, 10
	s_mov_b32 m0, s0
	s_sendmsg sendmsg(MSG_INTERRUPT)
	s_mov_b32 m0, ttmp2
.LBB4_328:                              ; =>This Inner Loop Header: Depth=1
	s_sethalt 5
	s_branch .LBB4_328
.LBB4_329:
	s_trap 2
	s_sendmsg_rtn_b32 s0, sendmsg(MSG_RTN_GET_DOORBELL)
	s_mov_b32 ttmp2, m0
	s_waitcnt lgkmcnt(0)
	s_and_b32 s0, s0, 0x3ff
	s_delay_alu instid0(SALU_CYCLE_1) | instskip(NEXT) | instid1(SALU_CYCLE_1)
	s_bitset1_b32 s0, 10
	s_mov_b32 m0, s0
	s_sendmsg sendmsg(MSG_INTERRUPT)
	s_mov_b32 m0, ttmp2
.LBB4_330:                              ; =>This Inner Loop Header: Depth=1
	s_sethalt 5
	s_branch .LBB4_330
.LBB4_331:
	s_trap 2
	s_sendmsg_rtn_b32 s0, sendmsg(MSG_RTN_GET_DOORBELL)
	s_mov_b32 ttmp2, m0
	s_waitcnt lgkmcnt(0)
	s_and_b32 s0, s0, 0x3ff
	s_delay_alu instid0(SALU_CYCLE_1) | instskip(NEXT) | instid1(SALU_CYCLE_1)
	s_bitset1_b32 s0, 10
	s_mov_b32 m0, s0
	s_sendmsg sendmsg(MSG_INTERRUPT)
	s_mov_b32 m0, ttmp2
.LBB4_332:                              ; =>This Inner Loop Header: Depth=1
	s_sethalt 5
	s_branch .LBB4_332
.LBB4_333:
	s_trap 2
	s_sendmsg_rtn_b32 s0, sendmsg(MSG_RTN_GET_DOORBELL)
	s_mov_b32 ttmp2, m0
	s_waitcnt lgkmcnt(0)
	s_and_b32 s0, s0, 0x3ff
	s_delay_alu instid0(SALU_CYCLE_1) | instskip(NEXT) | instid1(SALU_CYCLE_1)
	s_bitset1_b32 s0, 10
	s_mov_b32 m0, s0
	s_sendmsg sendmsg(MSG_INTERRUPT)
	s_mov_b32 m0, ttmp2
.LBB4_334:                              ; =>This Inner Loop Header: Depth=1
	s_sethalt 5
	s_branch .LBB4_334
.LBB4_335:
	s_trap 2
	s_sendmsg_rtn_b32 s0, sendmsg(MSG_RTN_GET_DOORBELL)
	s_mov_b32 ttmp2, m0
	s_waitcnt lgkmcnt(0)
	s_and_b32 s0, s0, 0x3ff
	s_delay_alu instid0(SALU_CYCLE_1) | instskip(NEXT) | instid1(SALU_CYCLE_1)
	s_bitset1_b32 s0, 10
	s_mov_b32 m0, s0
	s_sendmsg sendmsg(MSG_INTERRUPT)
	s_mov_b32 m0, ttmp2
.LBB4_336:                              ; =>This Inner Loop Header: Depth=1
	s_sethalt 5
	s_branch .LBB4_336
.LBB4_337:
	s_trap 2
	s_sendmsg_rtn_b32 s0, sendmsg(MSG_RTN_GET_DOORBELL)
	s_mov_b32 ttmp2, m0
	s_waitcnt lgkmcnt(0)
	s_and_b32 s0, s0, 0x3ff
	s_delay_alu instid0(SALU_CYCLE_1) | instskip(NEXT) | instid1(SALU_CYCLE_1)
	s_bitset1_b32 s0, 10
	s_mov_b32 m0, s0
	s_sendmsg sendmsg(MSG_INTERRUPT)
	s_mov_b32 m0, ttmp2
.LBB4_338:                              ; =>This Inner Loop Header: Depth=1
	s_sethalt 5
	s_branch .LBB4_338
.LBB4_339:
	s_trap 2
	s_sendmsg_rtn_b32 s0, sendmsg(MSG_RTN_GET_DOORBELL)
	s_mov_b32 ttmp2, m0
	s_waitcnt lgkmcnt(0)
	s_and_b32 s0, s0, 0x3ff
	s_delay_alu instid0(SALU_CYCLE_1) | instskip(NEXT) | instid1(SALU_CYCLE_1)
	s_bitset1_b32 s0, 10
	s_mov_b32 m0, s0
	s_sendmsg sendmsg(MSG_INTERRUPT)
	s_mov_b32 m0, ttmp2
.LBB4_340:                              ; =>This Inner Loop Header: Depth=1
	s_sethalt 5
	s_branch .LBB4_340
.LBB4_341:
	s_trap 2
	s_sendmsg_rtn_b32 s0, sendmsg(MSG_RTN_GET_DOORBELL)
	s_mov_b32 ttmp2, m0
	s_waitcnt lgkmcnt(0)
	s_and_b32 s0, s0, 0x3ff
	s_delay_alu instid0(SALU_CYCLE_1) | instskip(NEXT) | instid1(SALU_CYCLE_1)
	s_bitset1_b32 s0, 10
	s_mov_b32 m0, s0
	s_sendmsg sendmsg(MSG_INTERRUPT)
	s_mov_b32 m0, ttmp2
.LBB4_342:                              ; =>This Inner Loop Header: Depth=1
	s_sethalt 5
	s_branch .LBB4_342
.LBB4_343:                              ;   in Loop: Header=BB4_344 Depth=1
	s_or_b32 exec_lo, exec_lo, s10
	s_delay_alu instid0(SALU_CYCLE_1) | instskip(NEXT) | instid1(SALU_CYCLE_1)
	s_and_b32 s8, exec_lo, s9
	s_or_b32 s4, s8, s4
	s_and_not1_b32 s5, s5, exec_lo
	s_and_b32 s8, s6, exec_lo
	s_delay_alu instid0(SALU_CYCLE_1)
	s_or_b32 s5, s5, s8
	s_and_not1_b32 exec_lo, exec_lo, s4
	s_cbranch_execz .LBB4_390
.LBB4_344:                              ; =>This Inner Loop Header: Depth=1
	s_add_i32 s7, s7, 1
                                        ; implicit-def: $sgpr9
	s_delay_alu instid0(SALU_CYCLE_1) | instskip(SKIP_1) | instid1(SALU_CYCLE_1)
	s_cmpk_lg_i32 s7, 0x2710
	s_cselect_b32 s8, -1, 0
	s_and_b32 vcc_lo, exec_lo, s8
	s_cbranch_vccz .LBB4_348
.LBB4_345:                              ;   in Loop: Header=BB4_344 Depth=1
	s_and_not1_b32 s6, s6, exec_lo
	s_and_b32 s10, s9, exec_lo
	s_mov_b32 s9, -1
	s_or_b32 s6, s6, s10
	s_and_saveexec_b32 s10, s8
	s_cbranch_execz .LBB4_343
; %bb.346:                              ;   in Loop: Header=BB4_344 Depth=1
	s_sleep 1
	s_cbranch_execnz .LBB4_368
; %bb.347:                              ;   in Loop: Header=BB4_344 Depth=1
	ds_load_b64 v[2:3], v0
	s_and_not1_b32 s6, s6, exec_lo
	s_waitcnt lgkmcnt(0)
	v_cmp_ge_u64_e32 vcc_lo, v[2:3], v[0:1]
	s_or_not1_b32 s9, vcc_lo, exec_lo
	s_branch .LBB4_343
.LBB4_348:                              ;   in Loop: Header=BB4_344 Depth=1
	s_cbranch_execnz .LBB4_374
; %bb.349:                              ;   in Loop: Header=BB4_344 Depth=1
	ds_load_b64 v[2:3], v0
	s_and_not1_b32 s8, s8, exec_lo
	s_mov_b32 s7, 0
	s_mov_b32 s9, -1
	s_waitcnt lgkmcnt(0)
	flat_load_b32 v2, v[2:3] glc
	s_waitcnt vmcnt(0) lgkmcnt(0)
	buffer_gl1_inv
	buffer_gl0_inv
	v_cmp_eq_u32_e32 vcc_lo, 0, v2
	s_and_b32 s10, vcc_lo, exec_lo
	s_delay_alu instid0(SALU_CYCLE_1)
	s_or_b32 s8, s8, s10
	s_branch .LBB4_345
.LBB4_350:
	s_trap 2
	s_sendmsg_rtn_b32 s0, sendmsg(MSG_RTN_GET_DOORBELL)
	s_mov_b32 ttmp2, m0
	s_waitcnt lgkmcnt(0)
	s_and_b32 s0, s0, 0x3ff
	s_delay_alu instid0(SALU_CYCLE_1) | instskip(NEXT) | instid1(SALU_CYCLE_1)
	s_bitset1_b32 s0, 10
	s_mov_b32 m0, s0
	s_sendmsg sendmsg(MSG_INTERRUPT)
	s_mov_b32 m0, ttmp2
.LBB4_351:                              ; =>This Inner Loop Header: Depth=1
	s_sethalt 5
	s_branch .LBB4_351
.LBB4_352:
	s_trap 2
	s_sendmsg_rtn_b32 s0, sendmsg(MSG_RTN_GET_DOORBELL)
	s_mov_b32 ttmp2, m0
	s_waitcnt lgkmcnt(0)
	s_and_b32 s0, s0, 0x3ff
	s_delay_alu instid0(SALU_CYCLE_1) | instskip(NEXT) | instid1(SALU_CYCLE_1)
	s_bitset1_b32 s0, 10
	s_mov_b32 m0, s0
	s_sendmsg sendmsg(MSG_INTERRUPT)
	s_mov_b32 m0, ttmp2
.LBB4_353:                              ; =>This Inner Loop Header: Depth=1
	s_sethalt 5
	s_branch .LBB4_353
.LBB4_354:
	s_trap 2
	s_sendmsg_rtn_b32 s0, sendmsg(MSG_RTN_GET_DOORBELL)
	s_mov_b32 ttmp2, m0
	s_waitcnt lgkmcnt(0)
	s_and_b32 s0, s0, 0x3ff
	s_delay_alu instid0(SALU_CYCLE_1) | instskip(NEXT) | instid1(SALU_CYCLE_1)
	s_bitset1_b32 s0, 10
	s_mov_b32 m0, s0
	s_sendmsg sendmsg(MSG_INTERRUPT)
	s_mov_b32 m0, ttmp2
.LBB4_355:                              ; =>This Inner Loop Header: Depth=1
	s_sethalt 5
	s_branch .LBB4_355
.LBB4_356:
	s_trap 2
	s_sendmsg_rtn_b32 s0, sendmsg(MSG_RTN_GET_DOORBELL)
	s_mov_b32 ttmp2, m0
	s_waitcnt lgkmcnt(0)
	s_and_b32 s0, s0, 0x3ff
	s_delay_alu instid0(SALU_CYCLE_1) | instskip(NEXT) | instid1(SALU_CYCLE_1)
	s_bitset1_b32 s0, 10
	s_mov_b32 m0, s0
	s_sendmsg sendmsg(MSG_INTERRUPT)
	s_mov_b32 m0, ttmp2
.LBB4_357:                              ; =>This Inner Loop Header: Depth=1
	s_sethalt 5
	s_branch .LBB4_357
.LBB4_358:
	s_trap 2
	s_sendmsg_rtn_b32 s0, sendmsg(MSG_RTN_GET_DOORBELL)
	s_mov_b32 ttmp2, m0
	s_waitcnt lgkmcnt(0)
	s_and_b32 s0, s0, 0x3ff
	s_delay_alu instid0(SALU_CYCLE_1) | instskip(NEXT) | instid1(SALU_CYCLE_1)
	s_bitset1_b32 s0, 10
	s_mov_b32 m0, s0
	s_sendmsg sendmsg(MSG_INTERRUPT)
	s_mov_b32 m0, ttmp2
.LBB4_359:                              ; =>This Inner Loop Header: Depth=1
	s_sethalt 5
	s_branch .LBB4_359
.LBB4_360:
	s_trap 2
	s_sendmsg_rtn_b32 s0, sendmsg(MSG_RTN_GET_DOORBELL)
	s_mov_b32 ttmp2, m0
	s_waitcnt lgkmcnt(0)
	s_and_b32 s0, s0, 0x3ff
	s_delay_alu instid0(SALU_CYCLE_1) | instskip(NEXT) | instid1(SALU_CYCLE_1)
	s_bitset1_b32 s0, 10
	s_mov_b32 m0, s0
	s_sendmsg sendmsg(MSG_INTERRUPT)
	s_mov_b32 m0, ttmp2
.LBB4_361:                              ; =>This Inner Loop Header: Depth=1
	s_sethalt 5
	s_branch .LBB4_361
.LBB4_362:
	s_trap 2
	s_sendmsg_rtn_b32 s0, sendmsg(MSG_RTN_GET_DOORBELL)
	s_mov_b32 ttmp2, m0
	s_waitcnt lgkmcnt(0)
	s_and_b32 s0, s0, 0x3ff
	s_delay_alu instid0(SALU_CYCLE_1) | instskip(NEXT) | instid1(SALU_CYCLE_1)
	s_bitset1_b32 s0, 10
	s_mov_b32 m0, s0
	s_sendmsg sendmsg(MSG_INTERRUPT)
	s_mov_b32 m0, ttmp2
.LBB4_363:                              ; =>This Inner Loop Header: Depth=1
	s_sethalt 5
	s_branch .LBB4_363
.LBB4_364:
	s_trap 2
	s_sendmsg_rtn_b32 s0, sendmsg(MSG_RTN_GET_DOORBELL)
	s_mov_b32 ttmp2, m0
	s_waitcnt lgkmcnt(0)
	s_and_b32 s0, s0, 0x3ff
	s_delay_alu instid0(SALU_CYCLE_1) | instskip(NEXT) | instid1(SALU_CYCLE_1)
	s_bitset1_b32 s0, 10
	s_mov_b32 m0, s0
	s_sendmsg sendmsg(MSG_INTERRUPT)
	s_mov_b32 m0, ttmp2
.LBB4_365:                              ; =>This Inner Loop Header: Depth=1
	s_sethalt 5
	s_branch .LBB4_365
.LBB4_366:
	s_trap 2
	s_sendmsg_rtn_b32 s0, sendmsg(MSG_RTN_GET_DOORBELL)
	s_mov_b32 ttmp2, m0
	s_waitcnt lgkmcnt(0)
	s_and_b32 s0, s0, 0x3ff
	s_delay_alu instid0(SALU_CYCLE_1) | instskip(NEXT) | instid1(SALU_CYCLE_1)
	s_bitset1_b32 s0, 10
	s_mov_b32 m0, s0
	s_sendmsg sendmsg(MSG_INTERRUPT)
	s_mov_b32 m0, ttmp2
.LBB4_367:                              ; =>This Inner Loop Header: Depth=1
	s_sethalt 5
	s_branch .LBB4_367
.LBB4_368:
	s_trap 2
	s_sendmsg_rtn_b32 s0, sendmsg(MSG_RTN_GET_DOORBELL)
	s_mov_b32 ttmp2, m0
	s_waitcnt lgkmcnt(0)
	s_and_b32 s0, s0, 0x3ff
	s_delay_alu instid0(SALU_CYCLE_1) | instskip(NEXT) | instid1(SALU_CYCLE_1)
	s_bitset1_b32 s0, 10
	s_mov_b32 m0, s0
	s_sendmsg sendmsg(MSG_INTERRUPT)
	s_mov_b32 m0, ttmp2
.LBB4_369:                              ; =>This Inner Loop Header: Depth=1
	s_sethalt 5
	s_branch .LBB4_369
.LBB4_370:
	s_trap 2
	s_sendmsg_rtn_b32 s0, sendmsg(MSG_RTN_GET_DOORBELL)
	s_mov_b32 ttmp2, m0
	s_waitcnt lgkmcnt(0)
	s_and_b32 s0, s0, 0x3ff
	s_delay_alu instid0(SALU_CYCLE_1) | instskip(NEXT) | instid1(SALU_CYCLE_1)
	s_bitset1_b32 s0, 10
	s_mov_b32 m0, s0
	s_sendmsg sendmsg(MSG_INTERRUPT)
	s_mov_b32 m0, ttmp2
.LBB4_371:                              ; =>This Inner Loop Header: Depth=1
	s_sethalt 5
	s_branch .LBB4_371
.LBB4_372:
	s_trap 2
	s_sendmsg_rtn_b32 s0, sendmsg(MSG_RTN_GET_DOORBELL)
	s_mov_b32 ttmp2, m0
	s_waitcnt lgkmcnt(0)
	s_and_b32 s0, s0, 0x3ff
	s_delay_alu instid0(SALU_CYCLE_1) | instskip(NEXT) | instid1(SALU_CYCLE_1)
	s_bitset1_b32 s0, 10
	s_mov_b32 m0, s0
	s_sendmsg sendmsg(MSG_INTERRUPT)
	s_mov_b32 m0, ttmp2
.LBB4_373:                              ; =>This Inner Loop Header: Depth=1
	s_sethalt 5
	s_branch .LBB4_373
.LBB4_374:
	s_trap 2
	s_sendmsg_rtn_b32 s0, sendmsg(MSG_RTN_GET_DOORBELL)
	s_mov_b32 ttmp2, m0
	s_waitcnt lgkmcnt(0)
	s_and_b32 s0, s0, 0x3ff
	s_delay_alu instid0(SALU_CYCLE_1) | instskip(NEXT) | instid1(SALU_CYCLE_1)
	s_bitset1_b32 s0, 10
	s_mov_b32 m0, s0
	s_sendmsg sendmsg(MSG_INTERRUPT)
	s_mov_b32 m0, ttmp2
.LBB4_375:                              ; =>This Inner Loop Header: Depth=1
	s_sethalt 5
	s_branch .LBB4_375
.LBB4_376:
	s_trap 2
	s_sendmsg_rtn_b32 s0, sendmsg(MSG_RTN_GET_DOORBELL)
	s_mov_b32 ttmp2, m0
	s_waitcnt lgkmcnt(0)
	s_and_b32 s0, s0, 0x3ff
	s_delay_alu instid0(SALU_CYCLE_1) | instskip(NEXT) | instid1(SALU_CYCLE_1)
	s_bitset1_b32 s0, 10
	s_mov_b32 m0, s0
	s_sendmsg sendmsg(MSG_INTERRUPT)
	s_mov_b32 m0, ttmp2
.LBB4_377:                              ; =>This Inner Loop Header: Depth=1
	s_sethalt 5
	s_branch .LBB4_377
.LBB4_378:
	s_trap 2
	s_sendmsg_rtn_b32 s0, sendmsg(MSG_RTN_GET_DOORBELL)
	s_mov_b32 ttmp2, m0
	s_waitcnt lgkmcnt(0)
	s_and_b32 s0, s0, 0x3ff
	s_delay_alu instid0(SALU_CYCLE_1) | instskip(NEXT) | instid1(SALU_CYCLE_1)
	s_bitset1_b32 s0, 10
	s_mov_b32 m0, s0
	s_sendmsg sendmsg(MSG_INTERRUPT)
	s_mov_b32 m0, ttmp2
.LBB4_379:                              ; =>This Inner Loop Header: Depth=1
	s_sethalt 5
	s_branch .LBB4_379
.LBB4_380:
	s_trap 2
	s_sendmsg_rtn_b32 s0, sendmsg(MSG_RTN_GET_DOORBELL)
	s_mov_b32 ttmp2, m0
	s_waitcnt lgkmcnt(0)
	s_and_b32 s0, s0, 0x3ff
	s_delay_alu instid0(SALU_CYCLE_1) | instskip(NEXT) | instid1(SALU_CYCLE_1)
	s_bitset1_b32 s0, 10
	s_mov_b32 m0, s0
	s_sendmsg sendmsg(MSG_INTERRUPT)
	s_mov_b32 m0, ttmp2
.LBB4_381:                              ; =>This Inner Loop Header: Depth=1
	s_sethalt 5
	s_branch .LBB4_381
.LBB4_382:
	s_trap 2
	s_sendmsg_rtn_b32 s0, sendmsg(MSG_RTN_GET_DOORBELL)
	s_mov_b32 ttmp2, m0
	s_waitcnt lgkmcnt(0)
	s_and_b32 s0, s0, 0x3ff
	s_delay_alu instid0(SALU_CYCLE_1) | instskip(NEXT) | instid1(SALU_CYCLE_1)
	s_bitset1_b32 s0, 10
	s_mov_b32 m0, s0
	s_sendmsg sendmsg(MSG_INTERRUPT)
	s_mov_b32 m0, ttmp2
.LBB4_383:                              ; =>This Inner Loop Header: Depth=1
	s_sethalt 5
	s_branch .LBB4_383
.LBB4_384:
	s_trap 2
	s_sendmsg_rtn_b32 s0, sendmsg(MSG_RTN_GET_DOORBELL)
	s_mov_b32 ttmp2, m0
	s_waitcnt lgkmcnt(0)
	s_and_b32 s0, s0, 0x3ff
	s_delay_alu instid0(SALU_CYCLE_1) | instskip(NEXT) | instid1(SALU_CYCLE_1)
	s_bitset1_b32 s0, 10
	s_mov_b32 m0, s0
	s_sendmsg sendmsg(MSG_INTERRUPT)
	s_mov_b32 m0, ttmp2
.LBB4_385:                              ; =>This Inner Loop Header: Depth=1
	s_sethalt 5
	s_branch .LBB4_385
.LBB4_386:
	s_trap 2
	s_sendmsg_rtn_b32 s0, sendmsg(MSG_RTN_GET_DOORBELL)
	s_mov_b32 ttmp2, m0
	s_waitcnt lgkmcnt(0)
	s_and_b32 s0, s0, 0x3ff
	s_delay_alu instid0(SALU_CYCLE_1) | instskip(NEXT) | instid1(SALU_CYCLE_1)
	s_bitset1_b32 s0, 10
	s_mov_b32 m0, s0
	s_sendmsg sendmsg(MSG_INTERRUPT)
	s_mov_b32 m0, ttmp2
.LBB4_387:                              ; =>This Inner Loop Header: Depth=1
	s_sethalt 5
	s_branch .LBB4_387
.LBB4_388:
	s_trap 2
	s_sendmsg_rtn_b32 s0, sendmsg(MSG_RTN_GET_DOORBELL)
	s_mov_b32 ttmp2, m0
	s_waitcnt lgkmcnt(0)
	s_and_b32 s0, s0, 0x3ff
	s_delay_alu instid0(SALU_CYCLE_1) | instskip(NEXT) | instid1(SALU_CYCLE_1)
	s_bitset1_b32 s0, 10
	s_mov_b32 m0, s0
	s_sendmsg sendmsg(MSG_INTERRUPT)
	s_mov_b32 m0, ttmp2
.LBB4_389:                              ; =>This Inner Loop Header: Depth=1
	s_sethalt 5
	s_branch .LBB4_389
.LBB4_390:
	s_or_b32 exec_lo, exec_lo, s4
	s_and_saveexec_b32 s4, s5
	s_delay_alu instid0(SALU_CYCLE_1)
	s_xor_b32 s4, exec_lo, s4
	s_cbranch_execz .LBB4_392
; %bb.391:
	v_mov_b32_e32 v0, 1
	ds_store_b32 v0, v0
	s_cbranch_execnz .LBB4_399
.LBB4_392:
	s_or_b32 exec_lo, exec_lo, s3
	;;#ASMSTART
	s_wakeup
	;;#ASMEND
.LBB4_393:
	s_or_b32 exec_lo, exec_lo, s2
.LBB4_394:
	s_and_not1_saveexec_b32 s1, s1
	s_cbranch_execz .LBB4_396
; %bb.395:
	s_waitcnt vmcnt(0) lgkmcnt(0)
	s_waitcnt_vscnt null, 0x0
	buffer_gl1_inv
	buffer_gl0_inv
	s_barrier
.LBB4_396:
	s_or_b32 exec_lo, exec_lo, s0
	s_waitcnt vmcnt(0) lgkmcnt(0)
	s_setpc_b64 s[30:31]
.LBB4_397:
	s_trap 2
	s_sendmsg_rtn_b32 s0, sendmsg(MSG_RTN_GET_DOORBELL)
	s_mov_b32 ttmp2, m0
	s_waitcnt lgkmcnt(0)
	s_and_b32 s0, s0, 0x3ff
	s_delay_alu instid0(SALU_CYCLE_1) | instskip(NEXT) | instid1(SALU_CYCLE_1)
	s_bitset1_b32 s0, 10
	s_mov_b32 m0, s0
	s_sendmsg sendmsg(MSG_INTERRUPT)
	s_mov_b32 m0, ttmp2
.LBB4_398:                              ; =>This Inner Loop Header: Depth=1
	s_sethalt 5
	s_branch .LBB4_398
.LBB4_399:
	s_trap 2
	s_sendmsg_rtn_b32 s0, sendmsg(MSG_RTN_GET_DOORBELL)
	s_mov_b32 ttmp2, m0
	s_waitcnt lgkmcnt(0)
	s_and_b32 s0, s0, 0x3ff
	s_delay_alu instid0(SALU_CYCLE_1) | instskip(NEXT) | instid1(SALU_CYCLE_1)
	s_bitset1_b32 s0, 10
	s_mov_b32 m0, s0
	s_sendmsg sendmsg(MSG_INTERRUPT)
	s_mov_b32 m0, ttmp2
.LBB4_400:                              ; =>This Inner Loop Header: Depth=1
	s_sethalt 5
	s_branch .LBB4_400
.LBB4_401:
	s_trap 2
	s_sendmsg_rtn_b32 s0, sendmsg(MSG_RTN_GET_DOORBELL)
	s_mov_b32 ttmp2, m0
	s_waitcnt lgkmcnt(0)
	s_and_b32 s0, s0, 0x3ff
	s_delay_alu instid0(SALU_CYCLE_1) | instskip(NEXT) | instid1(SALU_CYCLE_1)
	s_bitset1_b32 s0, 10
	s_mov_b32 m0, s0
	s_sendmsg sendmsg(MSG_INTERRUPT)
	s_mov_b32 m0, ttmp2
.LBB4_402:                              ; =>This Inner Loop Header: Depth=1
	s_sethalt 5
	s_branch .LBB4_402
.LBB4_403:
	s_trap 2
	s_sendmsg_rtn_b32 s0, sendmsg(MSG_RTN_GET_DOORBELL)
	s_mov_b32 ttmp2, m0
	s_waitcnt lgkmcnt(0)
	s_and_b32 s0, s0, 0x3ff
	s_delay_alu instid0(SALU_CYCLE_1) | instskip(NEXT) | instid1(SALU_CYCLE_1)
	s_bitset1_b32 s0, 10
	s_mov_b32 m0, s0
	s_sendmsg sendmsg(MSG_INTERRUPT)
	s_mov_b32 m0, ttmp2
.LBB4_404:                              ; =>This Inner Loop Header: Depth=1
	s_sethalt 5
	s_branch .LBB4_404
.LBB4_405:
	s_trap 2
	s_sendmsg_rtn_b32 s0, sendmsg(MSG_RTN_GET_DOORBELL)
	s_mov_b32 ttmp2, m0
	s_waitcnt lgkmcnt(0)
	s_and_b32 s0, s0, 0x3ff
	s_delay_alu instid0(SALU_CYCLE_1) | instskip(NEXT) | instid1(SALU_CYCLE_1)
	s_bitset1_b32 s0, 10
	s_mov_b32 m0, s0
	s_sendmsg sendmsg(MSG_INTERRUPT)
	s_mov_b32 m0, ttmp2
.LBB4_406:                              ; =>This Inner Loop Header: Depth=1
	s_sethalt 5
	s_branch .LBB4_406
.Lfunc_end4:
	.size	_ZN12_GLOBAL__N_17runRingI12hip_bfloat1613FuncPreMulSumIS1_E7ProtoLLLi0ELi4ELi0EEEviiP15ncclDevWorkColl, .Lfunc_end4-_ZN12_GLOBAL__N_17runRingI12hip_bfloat1613FuncPreMulSumIS1_E7ProtoLLLi0ELi4ELi0EEEviiP15ncclDevWorkColl
                                        ; -- End function
	.section	.AMDGPU.csdata,"",@progbits
; Function info:
; codeLenInByte = 12040
; NumSgprs: 34
; NumVgprs: 179
; ScratchSize: 0
; MemoryBound: 0
	.text
	.p2align	2                               ; -- Begin function _Z54ncclDevFunc_ReduceScatter_RING_LL_PreMulSum_bf16_0_0_4v
	.type	_Z54ncclDevFunc_ReduceScatter_RING_LL_PreMulSum_bf16_0_0_4v,@function
_Z54ncclDevFunc_ReduceScatter_RING_LL_PreMulSum_bf16_0_0_4v: ; @_Z54ncclDevFunc_ReduceScatter_RING_LL_PreMulSum_bf16_0_0_4v
; %bb.0:
	s_waitcnt vmcnt(0) expcnt(0) lgkmcnt(0)
	s_mov_b32 s0, s33
	s_mov_b32 s33, s32
	s_or_saveexec_b32 s1, -1
	scratch_store_b32 off, v40, s33         ; 4-byte Folded Spill
	s_mov_b32 exec_lo, s1
	v_writelane_b32 v40, s0, 6
	s_add_i32 s32, s32, 16
	v_writelane_b32 v40, s34, 0
	v_writelane_b32 v40, s35, 1
	;; [unrolled: 1-line block ×6, first 2 shown]
	s_cbranch_execnz .LBB5_7
; %bb.1:
	ds_load_b32 v0, v0
	v_and_b32_e32 v179, 0x3ff, v31
	s_mov_b32 s0, exec_lo
	s_waitcnt lgkmcnt(0)
	s_delay_alu instid0(VALU_DEP_1)
	v_cmpx_lt_i32_e64 v179, v0
	s_cbranch_execz .LBB5_9
; %bb.2:
	s_load_b32 s1, s[8:9], 0x0
	v_mov_b32_e32 v1, 0
	s_waitcnt lgkmcnt(0)
	s_cmp_lt_u32 s12, s1
	s_cselect_b32 s1, 12, 18
	s_delay_alu instid0(SALU_CYCLE_1)
	s_add_u32 s2, s8, s1
	s_addc_u32 s3, s9, 0
	s_mov_b32 s1, 0
	global_load_u16 v1, v1, s[2:3]
	s_cbranch_execnz .LBB5_24
; %bb.3:
	ds_load_b32 v2, v0
	v_mov_b32_e32 v3, v179
	s_mov_b32 s2, 0
                                        ; implicit-def: $vgpr4
	s_waitcnt vmcnt(0) lgkmcnt(0)
	v_mul_lo_u32 v2, v2, v1
	s_branch .LBB5_5
	.p2align	6
.LBB5_4:                                ;   in Loop: Header=BB5_5 Depth=1
	s_or_b32 exec_lo, exec_lo, s3
	v_add_nc_u32_e32 v3, v3, v1
	v_add_nc_u32_e32 v4, v4, v2
	s_delay_alu instid0(VALU_DEP_2) | instskip(SKIP_1) | instid1(SALU_CYCLE_1)
	v_cmp_ge_i32_e32 vcc_lo, v3, v0
	s_or_b32 s1, vcc_lo, s1
	s_and_not1_b32 exec_lo, exec_lo, s1
	s_cbranch_execz .LBB5_9
.LBB5_5:                                ; =>This Inner Loop Header: Depth=1
	ds_load_b32 v5, v4
	s_mov_b32 s3, exec_lo
	s_waitcnt lgkmcnt(0)
	v_and_b32_e32 v5, 0x1000000, v5
	s_delay_alu instid0(VALU_DEP_1)
	v_cmpx_ne_u32_e32 0, v5
	s_cbranch_execz .LBB5_4
; %bb.6:                                ;   in Loop: Header=BB5_5 Depth=1
	ds_load_b64 v[5:6], v4 offset:104
	s_waitcnt lgkmcnt(0)
	flat_load_u16 v5, v[5:6]
	s_waitcnt vmcnt(0) lgkmcnt(0)
	v_dual_mov_b32 v6, s2 :: v_dual_and_b32 v5, 0xffff, v5
	ds_store_b64 v4, v[5:6] offset:104
	s_branch .LBB5_4
.LBB5_7:
	s_trap 2
	s_sendmsg_rtn_b32 s0, sendmsg(MSG_RTN_GET_DOORBELL)
	s_mov_b32 ttmp2, m0
	s_waitcnt lgkmcnt(0)
	s_and_b32 s0, s0, 0x3ff
	s_delay_alu instid0(SALU_CYCLE_1) | instskip(NEXT) | instid1(SALU_CYCLE_1)
	s_bitset1_b32 s0, 10
	s_mov_b32 m0, s0
	s_sendmsg sendmsg(MSG_INTERRUPT)
	s_mov_b32 m0, ttmp2
.LBB5_8:                                ; =>This Inner Loop Header: Depth=1
	s_sethalt 5
	s_branch .LBB5_8
.LBB5_9:
	s_or_b32 exec_lo, exec_lo, s0
	s_waitcnt lgkmcnt(0)
	s_waitcnt_vscnt null, 0x0
	s_barrier
	buffer_gl0_inv
	s_cbranch_execnz .LBB5_22
; %bb.10:
	ds_load_b32 v0, v0
	s_waitcnt lgkmcnt(0)
	v_cmp_gt_i32_e32 vcc_lo, 1, v0
	s_cbranch_vccnz .LBB5_21
; %bb.11:
	s_mov_b32 s36, 0
	s_mov_b64 s[34:35], src_shared_base
.LBB5_12:                               ; =>This Inner Loop Header: Depth=1
	s_cbranch_execnz .LBB5_26
; %bb.13:                               ;   in Loop: Header=BB5_12 Depth=1
	ds_load_b32 v0, v0
	s_cmp_eq_u32 s36, 0
	s_cbranch_scc1 .LBB5_17
; %bb.14:                               ;   in Loop: Header=BB5_12 Depth=1
	s_cbranch_execnz .LBB5_30
; %bb.15:                               ;   in Loop: Header=BB5_12 Depth=1
	s_waitcnt lgkmcnt(0)
	ds_load_b32 v1, v0
	s_waitcnt lgkmcnt(0)
	v_xor_b32_e32 v1, v1, v0
	s_delay_alu instid0(VALU_DEP_1) | instskip(NEXT) | instid1(VALU_DEP_1)
	v_and_b32_e32 v1, 0xff0000, v1
	v_cmp_eq_u32_e32 vcc_lo, 0, v1
	s_cbranch_vccnz .LBB5_17
; %bb.16:                               ;   in Loop: Header=BB5_12 Depth=1
	s_waitcnt_vscnt null, 0x0
	s_barrier
	buffer_gl0_inv
	ds_load_b32 v0, v0
.LBB5_17:                               ;   in Loop: Header=BB5_12 Depth=1
	s_waitcnt lgkmcnt(0)
	v_lshrrev_b32_e32 v0, 11, v0
	s_mov_b32 s37, exec_lo
	s_delay_alu instid0(VALU_DEP_1) | instskip(NEXT) | instid1(VALU_DEP_1)
	v_and_b32_e32 v1, 0x1fe0, v0
	v_cmpx_lt_u32_e64 v179, v1
	s_cbranch_execz .LBB5_19
; %bb.18:                               ;   in Loop: Header=BB5_12 Depth=1
	v_dual_mov_b32 v0, v179 :: v_dual_mov_b32 v3, s35
	s_getpc_b64 s[0:1]
	s_add_u32 s0, s0, _ZN12_GLOBAL__N_17runRingI12hip_bfloat1613FuncPreMulSumIS1_E7ProtoLLLi0ELi4ELi0EEEviiP15ncclDevWorkColl@rel32@lo+4
	s_addc_u32 s1, s1, _ZN12_GLOBAL__N_17runRingI12hip_bfloat1613FuncPreMulSumIS1_E7ProtoLLLi0ELi4ELi0EEEviiP15ncclDevWorkColl@rel32@hi+12
	s_mov_b64 s[28:29], s[8:9]
	s_mov_b32 s34, s12
	s_swappc_b64 s[30:31], s[0:1]
	s_mov_b32 s12, s34
	s_mov_b64 s[8:9], s[28:29]
.LBB5_19:                               ;   in Loop: Header=BB5_12 Depth=1
	s_or_b32 exec_lo, exec_lo, s37
	s_cbranch_execnz .LBB5_28
; %bb.20:                               ;   in Loop: Header=BB5_12 Depth=1
	ds_load_b32 v0, v0
	s_add_i32 s36, s36, 1
	s_waitcnt lgkmcnt(0)
	v_cmp_lt_i32_e32 vcc_lo, s36, v0
	s_cbranch_vccnz .LBB5_12
.LBB5_21:
	v_readlane_b32 s30, v40, 4
	v_readlane_b32 s31, v40, 5
	;; [unrolled: 1-line block ×7, first 2 shown]
	s_or_saveexec_b32 s1, -1
	scratch_load_b32 v40, off, s33          ; 4-byte Folded Reload
	s_mov_b32 exec_lo, s1
	s_add_i32 s32, s32, -16
	s_mov_b32 s33, s0
	s_waitcnt vmcnt(0)
	s_setpc_b64 s[30:31]
.LBB5_22:
	s_trap 2
	s_sendmsg_rtn_b32 s0, sendmsg(MSG_RTN_GET_DOORBELL)
	s_mov_b32 ttmp2, m0
	s_waitcnt lgkmcnt(0)
	s_and_b32 s0, s0, 0x3ff
	s_delay_alu instid0(SALU_CYCLE_1) | instskip(NEXT) | instid1(SALU_CYCLE_1)
	s_bitset1_b32 s0, 10
	s_mov_b32 m0, s0
	s_sendmsg sendmsg(MSG_INTERRUPT)
	s_mov_b32 m0, ttmp2
.LBB5_23:                               ; =>This Inner Loop Header: Depth=1
	s_sethalt 5
	s_branch .LBB5_23
.LBB5_24:
	s_trap 2
	s_sendmsg_rtn_b32 s0, sendmsg(MSG_RTN_GET_DOORBELL)
	s_mov_b32 ttmp2, m0
	s_waitcnt lgkmcnt(0)
	s_and_b32 s0, s0, 0x3ff
	s_delay_alu instid0(SALU_CYCLE_1) | instskip(NEXT) | instid1(SALU_CYCLE_1)
	s_bitset1_b32 s0, 10
	s_mov_b32 m0, s0
	s_sendmsg sendmsg(MSG_INTERRUPT)
	s_mov_b32 m0, ttmp2
.LBB5_25:                               ; =>This Inner Loop Header: Depth=1
	s_sethalt 5
	s_branch .LBB5_25
.LBB5_26:
	s_trap 2
	s_sendmsg_rtn_b32 s0, sendmsg(MSG_RTN_GET_DOORBELL)
	s_mov_b32 ttmp2, m0
	s_waitcnt lgkmcnt(0)
	s_and_b32 s0, s0, 0x3ff
	s_delay_alu instid0(SALU_CYCLE_1) | instskip(NEXT) | instid1(SALU_CYCLE_1)
	s_bitset1_b32 s0, 10
	s_mov_b32 m0, s0
	s_sendmsg sendmsg(MSG_INTERRUPT)
	s_mov_b32 m0, ttmp2
.LBB5_27:                               ; =>This Inner Loop Header: Depth=1
	s_sethalt 5
	s_branch .LBB5_27
.LBB5_28:
	s_trap 2
	s_sendmsg_rtn_b32 s0, sendmsg(MSG_RTN_GET_DOORBELL)
	s_mov_b32 ttmp2, m0
	s_waitcnt lgkmcnt(0)
	s_and_b32 s0, s0, 0x3ff
	s_delay_alu instid0(SALU_CYCLE_1) | instskip(NEXT) | instid1(SALU_CYCLE_1)
	s_bitset1_b32 s0, 10
	s_mov_b32 m0, s0
	s_sendmsg sendmsg(MSG_INTERRUPT)
	s_mov_b32 m0, ttmp2
.LBB5_29:                               ; =>This Inner Loop Header: Depth=1
	s_sethalt 5
	s_branch .LBB5_29
.LBB5_30:
	s_trap 2
	s_sendmsg_rtn_b32 s0, sendmsg(MSG_RTN_GET_DOORBELL)
	s_mov_b32 ttmp2, m0
	s_waitcnt lgkmcnt(0)
	s_and_b32 s0, s0, 0x3ff
	s_delay_alu instid0(SALU_CYCLE_1) | instskip(NEXT) | instid1(SALU_CYCLE_1)
	s_bitset1_b32 s0, 10
	s_mov_b32 m0, s0
	s_sendmsg sendmsg(MSG_INTERRUPT)
	s_mov_b32 m0, ttmp2
.LBB5_31:                               ; =>This Inner Loop Header: Depth=1
	s_sethalt 5
	s_branch .LBB5_31
.Lfunc_end5:
	.size	_Z54ncclDevFunc_ReduceScatter_RING_LL_PreMulSum_bf16_0_0_4v, .Lfunc_end5-_Z54ncclDevFunc_ReduceScatter_RING_LL_PreMulSum_bf16_0_0_4v
                                        ; -- End function
	.section	.AMDGPU.csdata,"",@progbits
; Function info:
; codeLenInByte = 992
; NumSgprs: 40
; NumVgprs: 180
; ScratchSize: 16
; MemoryBound: 0
	.text
	.p2alignl 7, 3214868480
	.fill 96, 4, 3214868480
	.type	__hip_cuid_632971422b45f1e8,@object ; @__hip_cuid_632971422b45f1e8
	.section	.bss,"aw",@nobits
	.globl	__hip_cuid_632971422b45f1e8
__hip_cuid_632971422b45f1e8:
	.byte	0                               ; 0x0
	.size	__hip_cuid_632971422b45f1e8, 1

	.ident	"AMD clang version 19.0.0git (https://github.com/RadeonOpenCompute/llvm-project roc-6.4.0 25133 c7fe45cf4b819c5991fe208aaa96edf142730f1d)"
	.section	".note.GNU-stack","",@progbits
	.addrsig
	.addrsig_sym _Z54ncclDevFunc_ReduceScatter_RING_LL_PreMulSum_bf16_0_0_1v
	.addrsig_sym _Z54ncclDevFunc_ReduceScatter_RING_LL_PreMulSum_bf16_0_0_2v
	.addrsig_sym _Z54ncclDevFunc_ReduceScatter_RING_LL_PreMulSum_bf16_0_0_4v
	.addrsig_sym ncclShmem
	.addrsig_sym __hip_cuid_632971422b45f1e8
	.amdgpu_metadata
---
amdhsa.kernels:  []
amdhsa.target:   amdgcn-amd-amdhsa--gfx1100
amdhsa.version:
  - 1
  - 2
...

	.end_amdgpu_metadata
